;; amdgpu-corpus repo=ROCm/rocFFT kind=compiled arch=gfx1201 opt=O3
	.text
	.amdgcn_target "amdgcn-amd-amdhsa--gfx1201"
	.amdhsa_code_object_version 6
	.protected	fft_rtc_back_len1785_factors_17_3_5_7_wgs_119_tpt_119_halfLds_half_op_CI_CI_unitstride_sbrr_dirReg ; -- Begin function fft_rtc_back_len1785_factors_17_3_5_7_wgs_119_tpt_119_halfLds_half_op_CI_CI_unitstride_sbrr_dirReg
	.globl	fft_rtc_back_len1785_factors_17_3_5_7_wgs_119_tpt_119_halfLds_half_op_CI_CI_unitstride_sbrr_dirReg
	.p2align	8
	.type	fft_rtc_back_len1785_factors_17_3_5_7_wgs_119_tpt_119_halfLds_half_op_CI_CI_unitstride_sbrr_dirReg,@function
fft_rtc_back_len1785_factors_17_3_5_7_wgs_119_tpt_119_halfLds_half_op_CI_CI_unitstride_sbrr_dirReg: ; @fft_rtc_back_len1785_factors_17_3_5_7_wgs_119_tpt_119_halfLds_half_op_CI_CI_unitstride_sbrr_dirReg
; %bb.0:
	s_clause 0x2
	s_load_b128 s[4:7], s[0:1], 0x0
	s_load_b128 s[8:11], s[0:1], 0x58
	;; [unrolled: 1-line block ×3, first 2 shown]
	v_mul_u32_u24_e32 v1, 0x227, v0
	v_mov_b32_e32 v3, 0
	s_delay_alu instid0(VALU_DEP_2) | instskip(NEXT) | instid1(VALU_DEP_1)
	v_lshrrev_b32_e32 v1, 16, v1
	v_add_nc_u32_e32 v7, ttmp9, v1
	v_mov_b32_e32 v1, 0
	v_mov_b32_e32 v2, 0
	;; [unrolled: 1-line block ×3, first 2 shown]
	s_wait_kmcnt 0x0
	v_cmp_lt_u64_e64 s2, s[6:7], 2
	s_delay_alu instid0(VALU_DEP_1)
	s_and_b32 vcc_lo, exec_lo, s2
	s_cbranch_vccnz .LBB0_8
; %bb.1:
	s_load_b64 s[2:3], s[0:1], 0x10
	v_mov_b32_e32 v1, 0
	v_mov_b32_e32 v2, 0
	s_add_nc_u64 s[16:17], s[14:15], 8
	s_add_nc_u64 s[18:19], s[12:13], 8
	s_mov_b64 s[20:21], 1
	s_delay_alu instid0(VALU_DEP_1)
	v_dual_mov_b32 v6, v2 :: v_dual_mov_b32 v5, v1
	s_wait_kmcnt 0x0
	s_add_nc_u64 s[22:23], s[2:3], 8
	s_mov_b32 s3, 0
.LBB0_2:                                ; =>This Inner Loop Header: Depth=1
	s_load_b64 s[24:25], s[22:23], 0x0
                                        ; implicit-def: $vgpr9_vgpr10
	s_mov_b32 s2, exec_lo
	s_wait_kmcnt 0x0
	v_or_b32_e32 v4, s25, v8
	s_delay_alu instid0(VALU_DEP_1)
	v_cmpx_ne_u64_e32 0, v[3:4]
	s_wait_alu 0xfffe
	s_xor_b32 s26, exec_lo, s2
	s_cbranch_execz .LBB0_4
; %bb.3:                                ;   in Loop: Header=BB0_2 Depth=1
	s_cvt_f32_u32 s2, s24
	s_cvt_f32_u32 s27, s25
	s_sub_nc_u64 s[30:31], 0, s[24:25]
	s_wait_alu 0xfffe
	s_delay_alu instid0(SALU_CYCLE_1) | instskip(SKIP_1) | instid1(SALU_CYCLE_2)
	s_fmamk_f32 s2, s27, 0x4f800000, s2
	s_wait_alu 0xfffe
	v_s_rcp_f32 s2, s2
	s_delay_alu instid0(TRANS32_DEP_1) | instskip(SKIP_1) | instid1(SALU_CYCLE_2)
	s_mul_f32 s2, s2, 0x5f7ffffc
	s_wait_alu 0xfffe
	s_mul_f32 s27, s2, 0x2f800000
	s_wait_alu 0xfffe
	s_delay_alu instid0(SALU_CYCLE_2) | instskip(SKIP_1) | instid1(SALU_CYCLE_2)
	s_trunc_f32 s27, s27
	s_wait_alu 0xfffe
	s_fmamk_f32 s2, s27, 0xcf800000, s2
	s_cvt_u32_f32 s29, s27
	s_wait_alu 0xfffe
	s_delay_alu instid0(SALU_CYCLE_1) | instskip(SKIP_1) | instid1(SALU_CYCLE_2)
	s_cvt_u32_f32 s28, s2
	s_wait_alu 0xfffe
	s_mul_u64 s[34:35], s[30:31], s[28:29]
	s_wait_alu 0xfffe
	s_mul_hi_u32 s37, s28, s35
	s_mul_i32 s36, s28, s35
	s_mul_hi_u32 s2, s28, s34
	s_mul_i32 s33, s29, s34
	s_wait_alu 0xfffe
	s_add_nc_u64 s[36:37], s[2:3], s[36:37]
	s_mul_hi_u32 s27, s29, s34
	s_mul_hi_u32 s38, s29, s35
	s_add_co_u32 s2, s36, s33
	s_wait_alu 0xfffe
	s_add_co_ci_u32 s2, s37, s27
	s_mul_i32 s34, s29, s35
	s_add_co_ci_u32 s35, s38, 0
	s_wait_alu 0xfffe
	s_add_nc_u64 s[34:35], s[2:3], s[34:35]
	s_wait_alu 0xfffe
	v_add_co_u32 v4, s2, s28, s34
	s_delay_alu instid0(VALU_DEP_1) | instskip(SKIP_1) | instid1(VALU_DEP_1)
	s_cmp_lg_u32 s2, 0
	s_add_co_ci_u32 s29, s29, s35
	v_readfirstlane_b32 s28, v4
	s_wait_alu 0xfffe
	s_delay_alu instid0(VALU_DEP_1)
	s_mul_u64 s[30:31], s[30:31], s[28:29]
	s_wait_alu 0xfffe
	s_mul_hi_u32 s35, s28, s31
	s_mul_i32 s34, s28, s31
	s_mul_hi_u32 s2, s28, s30
	s_mul_i32 s33, s29, s30
	s_wait_alu 0xfffe
	s_add_nc_u64 s[34:35], s[2:3], s[34:35]
	s_mul_hi_u32 s27, s29, s30
	s_mul_hi_u32 s28, s29, s31
	s_wait_alu 0xfffe
	s_add_co_u32 s2, s34, s33
	s_add_co_ci_u32 s2, s35, s27
	s_mul_i32 s30, s29, s31
	s_add_co_ci_u32 s31, s28, 0
	s_wait_alu 0xfffe
	s_add_nc_u64 s[30:31], s[2:3], s[30:31]
	s_wait_alu 0xfffe
	v_add_co_u32 v4, s2, v4, s30
	s_delay_alu instid0(VALU_DEP_1) | instskip(SKIP_1) | instid1(VALU_DEP_1)
	s_cmp_lg_u32 s2, 0
	s_add_co_ci_u32 s2, s29, s31
	v_mul_hi_u32 v15, v7, v4
	s_wait_alu 0xfffe
	v_mad_co_u64_u32 v[9:10], null, v7, s2, 0
	v_mad_co_u64_u32 v[11:12], null, v8, v4, 0
	;; [unrolled: 1-line block ×3, first 2 shown]
	s_delay_alu instid0(VALU_DEP_3) | instskip(SKIP_1) | instid1(VALU_DEP_4)
	v_add_co_u32 v4, vcc_lo, v15, v9
	s_wait_alu 0xfffd
	v_add_co_ci_u32_e32 v9, vcc_lo, 0, v10, vcc_lo
	s_delay_alu instid0(VALU_DEP_2) | instskip(SKIP_1) | instid1(VALU_DEP_2)
	v_add_co_u32 v4, vcc_lo, v4, v11
	s_wait_alu 0xfffd
	v_add_co_ci_u32_e32 v4, vcc_lo, v9, v12, vcc_lo
	s_wait_alu 0xfffd
	v_add_co_ci_u32_e32 v9, vcc_lo, 0, v14, vcc_lo
	s_delay_alu instid0(VALU_DEP_2) | instskip(SKIP_1) | instid1(VALU_DEP_2)
	v_add_co_u32 v4, vcc_lo, v4, v13
	s_wait_alu 0xfffd
	v_add_co_ci_u32_e32 v11, vcc_lo, 0, v9, vcc_lo
	s_delay_alu instid0(VALU_DEP_2) | instskip(SKIP_1) | instid1(VALU_DEP_3)
	v_mul_lo_u32 v12, s25, v4
	v_mad_co_u64_u32 v[9:10], null, s24, v4, 0
	v_mul_lo_u32 v13, s24, v11
	s_delay_alu instid0(VALU_DEP_2) | instskip(NEXT) | instid1(VALU_DEP_2)
	v_sub_co_u32 v9, vcc_lo, v7, v9
	v_add3_u32 v10, v10, v13, v12
	s_delay_alu instid0(VALU_DEP_1) | instskip(SKIP_1) | instid1(VALU_DEP_1)
	v_sub_nc_u32_e32 v12, v8, v10
	s_wait_alu 0xfffd
	v_subrev_co_ci_u32_e64 v12, s2, s25, v12, vcc_lo
	v_add_co_u32 v13, s2, v4, 2
	s_wait_alu 0xf1ff
	v_add_co_ci_u32_e64 v14, s2, 0, v11, s2
	v_sub_co_u32 v15, s2, v9, s24
	v_sub_co_ci_u32_e32 v10, vcc_lo, v8, v10, vcc_lo
	s_wait_alu 0xf1ff
	v_subrev_co_ci_u32_e64 v12, s2, 0, v12, s2
	s_delay_alu instid0(VALU_DEP_3) | instskip(NEXT) | instid1(VALU_DEP_3)
	v_cmp_le_u32_e32 vcc_lo, s24, v15
	v_cmp_eq_u32_e64 s2, s25, v10
	s_wait_alu 0xfffd
	v_cndmask_b32_e64 v15, 0, -1, vcc_lo
	v_cmp_le_u32_e32 vcc_lo, s25, v12
	s_wait_alu 0xfffd
	v_cndmask_b32_e64 v16, 0, -1, vcc_lo
	v_cmp_le_u32_e32 vcc_lo, s24, v9
	;; [unrolled: 3-line block ×3, first 2 shown]
	s_wait_alu 0xfffd
	v_cndmask_b32_e64 v17, 0, -1, vcc_lo
	v_cmp_eq_u32_e32 vcc_lo, s25, v12
	s_wait_alu 0xf1ff
	s_delay_alu instid0(VALU_DEP_2)
	v_cndmask_b32_e64 v9, v17, v9, s2
	s_wait_alu 0xfffd
	v_cndmask_b32_e32 v12, v16, v15, vcc_lo
	v_add_co_u32 v15, vcc_lo, v4, 1
	s_wait_alu 0xfffd
	v_add_co_ci_u32_e32 v16, vcc_lo, 0, v11, vcc_lo
	s_delay_alu instid0(VALU_DEP_3) | instskip(SKIP_1) | instid1(VALU_DEP_2)
	v_cmp_ne_u32_e32 vcc_lo, 0, v12
	s_wait_alu 0xfffd
	v_cndmask_b32_e32 v10, v16, v14, vcc_lo
	v_cndmask_b32_e32 v12, v15, v13, vcc_lo
	v_cmp_ne_u32_e32 vcc_lo, 0, v9
	s_wait_alu 0xfffd
	s_delay_alu instid0(VALU_DEP_2)
	v_dual_cndmask_b32 v10, v11, v10 :: v_dual_cndmask_b32 v9, v4, v12
.LBB0_4:                                ;   in Loop: Header=BB0_2 Depth=1
	s_wait_alu 0xfffe
	s_and_not1_saveexec_b32 s2, s26
	s_cbranch_execz .LBB0_6
; %bb.5:                                ;   in Loop: Header=BB0_2 Depth=1
	v_cvt_f32_u32_e32 v4, s24
	s_sub_co_i32 s26, 0, s24
	s_delay_alu instid0(VALU_DEP_1) | instskip(NEXT) | instid1(TRANS32_DEP_1)
	v_rcp_iflag_f32_e32 v4, v4
	v_mul_f32_e32 v4, 0x4f7ffffe, v4
	s_delay_alu instid0(VALU_DEP_1) | instskip(SKIP_1) | instid1(VALU_DEP_1)
	v_cvt_u32_f32_e32 v4, v4
	s_wait_alu 0xfffe
	v_mul_lo_u32 v9, s26, v4
	s_delay_alu instid0(VALU_DEP_1) | instskip(NEXT) | instid1(VALU_DEP_1)
	v_mul_hi_u32 v9, v4, v9
	v_add_nc_u32_e32 v4, v4, v9
	s_delay_alu instid0(VALU_DEP_1) | instskip(NEXT) | instid1(VALU_DEP_1)
	v_mul_hi_u32 v4, v7, v4
	v_mul_lo_u32 v9, v4, s24
	v_add_nc_u32_e32 v10, 1, v4
	s_delay_alu instid0(VALU_DEP_2) | instskip(NEXT) | instid1(VALU_DEP_1)
	v_sub_nc_u32_e32 v9, v7, v9
	v_subrev_nc_u32_e32 v11, s24, v9
	v_cmp_le_u32_e32 vcc_lo, s24, v9
	s_wait_alu 0xfffd
	s_delay_alu instid0(VALU_DEP_2) | instskip(NEXT) | instid1(VALU_DEP_1)
	v_dual_cndmask_b32 v9, v9, v11 :: v_dual_cndmask_b32 v4, v4, v10
	v_cmp_le_u32_e32 vcc_lo, s24, v9
	s_delay_alu instid0(VALU_DEP_2) | instskip(SKIP_1) | instid1(VALU_DEP_1)
	v_add_nc_u32_e32 v10, 1, v4
	s_wait_alu 0xfffd
	v_dual_cndmask_b32 v9, v4, v10 :: v_dual_mov_b32 v10, v3
.LBB0_6:                                ;   in Loop: Header=BB0_2 Depth=1
	s_wait_alu 0xfffe
	s_or_b32 exec_lo, exec_lo, s2
	s_delay_alu instid0(VALU_DEP_1) | instskip(NEXT) | instid1(VALU_DEP_2)
	v_mul_lo_u32 v4, v10, s24
	v_mul_lo_u32 v13, v9, s25
	s_load_b64 s[26:27], s[18:19], 0x0
	v_mad_co_u64_u32 v[11:12], null, v9, s24, 0
	s_load_b64 s[24:25], s[16:17], 0x0
	s_add_nc_u64 s[20:21], s[20:21], 1
	s_add_nc_u64 s[16:17], s[16:17], 8
	s_wait_alu 0xfffe
	v_cmp_ge_u64_e64 s2, s[20:21], s[6:7]
	s_add_nc_u64 s[18:19], s[18:19], 8
	s_add_nc_u64 s[22:23], s[22:23], 8
	v_add3_u32 v4, v12, v13, v4
	v_sub_co_u32 v7, vcc_lo, v7, v11
	s_wait_alu 0xfffd
	s_delay_alu instid0(VALU_DEP_2) | instskip(SKIP_2) | instid1(VALU_DEP_1)
	v_sub_co_ci_u32_e32 v4, vcc_lo, v8, v4, vcc_lo
	s_and_b32 vcc_lo, exec_lo, s2
	s_wait_kmcnt 0x0
	v_mul_lo_u32 v8, s26, v4
	v_mul_lo_u32 v11, s27, v7
	v_mad_co_u64_u32 v[1:2], null, s26, v7, v[1:2]
	v_mul_lo_u32 v4, s24, v4
	v_mul_lo_u32 v12, s25, v7
	v_mad_co_u64_u32 v[5:6], null, s24, v7, v[5:6]
	s_delay_alu instid0(VALU_DEP_4) | instskip(NEXT) | instid1(VALU_DEP_2)
	v_add3_u32 v2, v11, v2, v8
	v_add3_u32 v6, v12, v6, v4
	s_wait_alu 0xfffe
	s_cbranch_vccnz .LBB0_9
; %bb.7:                                ;   in Loop: Header=BB0_2 Depth=1
	v_dual_mov_b32 v7, v9 :: v_dual_mov_b32 v8, v10
	s_branch .LBB0_2
.LBB0_8:
	v_dual_mov_b32 v6, v2 :: v_dual_mov_b32 v5, v1
	v_dual_mov_b32 v10, v8 :: v_dual_mov_b32 v9, v7
.LBB0_9:
	s_load_b64 s[0:1], s[0:1], 0x28
	v_mul_hi_u32 v3, 0x226b903, v0
	v_dual_mov_b32 v35, 0 :: v_dual_mov_b32 v20, 0
	s_lshl_b64 s[2:3], s[6:7], 3
                                        ; implicit-def: $vgpr41
                                        ; implicit-def: $vgpr16
                                        ; implicit-def: $vgpr40
                                        ; implicit-def: $vgpr17
                                        ; implicit-def: $vgpr39
                                        ; implicit-def: $vgpr8
                                        ; implicit-def: $vgpr38
                                        ; implicit-def: $vgpr14
                                        ; implicit-def: $vgpr37
                                        ; implicit-def: $vgpr15
                                        ; implicit-def: $vgpr36
                                        ; implicit-def: $vgpr13
                                        ; implicit-def: $vgpr34
                                        ; implicit-def: $vgpr11
                                        ; implicit-def: $vgpr32
                                        ; implicit-def: $vgpr12
                                        ; implicit-def: $vgpr31
                                        ; implicit-def: $vgpr29
                                        ; implicit-def: $vgpr18
                                        ; implicit-def: $vgpr27
                                        ; implicit-def: $vgpr22
                                        ; implicit-def: $vgpr26
                                        ; implicit-def: $vgpr24
                                        ; implicit-def: $vgpr25
                                        ; implicit-def: $vgpr28
                                        ; implicit-def: $vgpr23
                                        ; implicit-def: $vgpr30
                                        ; implicit-def: $vgpr21
                                        ; implicit-def: $vgpr33
                                        ; implicit-def: $vgpr19
	s_delay_alu instid0(VALU_DEP_2) | instskip(NEXT) | instid1(VALU_DEP_1)
	v_mul_u32_u24_e32 v3, 0x77, v3
	v_sub_nc_u32_e32 v7, v0, v3
                                        ; implicit-def: $vgpr0
	s_wait_kmcnt 0x0
	v_cmp_gt_u64_e32 vcc_lo, s[0:1], v[9:10]
	s_delay_alu instid0(VALU_DEP_2) | instskip(NEXT) | instid1(VALU_DEP_1)
	v_cmp_gt_u32_e64 s0, 0x69, v7
	s_and_b32 s1, vcc_lo, s0
	s_wait_alu 0xfffe
	s_and_saveexec_b32 s6, s1
	s_cbranch_execz .LBB0_11
; %bb.10:
	s_add_nc_u64 s[12:13], s[12:13], s[2:3]
	s_load_b64 s[12:13], s[12:13], 0x0
	s_wait_kmcnt 0x0
	v_mul_lo_u32 v0, s13, v9
	v_mul_lo_u32 v8, s12, v10
	v_mad_co_u64_u32 v[3:4], null, s12, v9, 0
	s_delay_alu instid0(VALU_DEP_1) | instskip(SKIP_2) | instid1(VALU_DEP_3)
	v_add3_u32 v4, v4, v8, v0
	v_mov_b32_e32 v8, 0
	v_lshlrev_b64_e32 v[0:1], 2, v[1:2]
	v_lshlrev_b64_e32 v[3:4], 2, v[3:4]
	s_delay_alu instid0(VALU_DEP_1) | instskip(SKIP_1) | instid1(VALU_DEP_2)
	v_add_co_u32 v11, s1, s8, v3
	s_wait_alu 0xf1ff
	v_add_co_ci_u32_e64 v4, s1, s9, v4, s1
	v_lshlrev_b64_e32 v[2:3], 2, v[7:8]
	s_delay_alu instid0(VALU_DEP_3) | instskip(SKIP_1) | instid1(VALU_DEP_3)
	v_add_co_u32 v0, s1, v11, v0
	s_wait_alu 0xf1ff
	v_add_co_ci_u32_e64 v1, s1, v4, v1, s1
	s_delay_alu instid0(VALU_DEP_2) | instskip(SKIP_1) | instid1(VALU_DEP_2)
	v_add_co_u32 v0, s1, v0, v2
	s_wait_alu 0xf1ff
	v_add_co_ci_u32_e64 v1, s1, v1, v3, s1
	s_clause 0x10
	global_load_b32 v2, v[0:1], off
	global_load_b32 v16, v[0:1], off offset:420
	global_load_b32 v17, v[0:1], off offset:840
	;; [unrolled: 1-line block ×16, first 2 shown]
	s_wait_loadcnt 0x10
	v_lshrrev_b32_e32 v35, 16, v2
	s_wait_loadcnt 0xf
	v_lshrrev_b32_e32 v41, 16, v16
	;; [unrolled: 2-line block ×17, first 2 shown]
	v_perm_b32 v20, v2, v3, 0x5040100
.LBB0_11:
	s_wait_alu 0xfffe
	s_or_b32 exec_lo, exec_lo, s6
	s_delay_alu instid0(VALU_DEP_2)
	v_sub_f16_e32 v53, v41, v0
	v_add_f16_e32 v54, v16, v25
	v_sub_f16_e32 v52, v40, v26
	v_add_f16_e32 v58, v17, v24
	v_sub_f16_e32 v56, v39, v27
	v_pk_mul_f16 v1, 0xb5c8b964, v53 op_sel_hi:[1,0]
	v_add_f16_e32 v61, v8, v22
	v_pk_mul_f16 v3, 0xb964bbf7, v52 op_sel_hi:[1,0]
	v_sub_f16_e32 v59, v38, v28
	v_pk_mul_f16 v42, 0xbb29ba62, v56 op_sel_hi:[1,0]
	v_pk_fma_f16 v2, 0x3b7639e9, v54, v1 op_sel_hi:[1,0,1] neg_lo:[0,0,1] neg_hi:[0,0,1]
	v_add_f16_e32 v62, v14, v23
	v_pk_fma_f16 v4, 0x39e92de8, v58, v3 op_sel_hi:[1,0,1] neg_lo:[0,0,1] neg_hi:[0,0,1]
	v_sub_f16_e32 v55, v37, v30
	v_pk_mul_f16 v43, 0xbbf7b1e1, v59 op_sel_hi:[1,0]
	v_pk_add_f16 v2, v20, v2 op_sel:[1,0]
	v_pk_fma_f16 v45, 0x3722b8d2, v61, v42 op_sel_hi:[1,0,1] neg_lo:[0,0,1] neg_hi:[0,0,1]
	v_add_f16_e32 v57, v15, v21
	v_sub_f16_e32 v47, v36, v29
	v_pk_mul_f16 v44, 0xbbb23836, v55 op_sel_hi:[1,0]
	v_pk_add_f16 v2, v4, v2
	v_pk_fma_f16 v4, 0x2de8bbdd, v62, v43 op_sel_hi:[1,0,1] neg_lo:[0,0,1] neg_hi:[0,0,1]
	v_add_f16_e32 v60, v13, v18
	v_sub_f16_e32 v48, v34, v33
	v_pk_fma_f16 v50, 0xb461bacd, v57, v44 op_sel_hi:[1,0,1] neg_lo:[0,0,1] neg_hi:[0,0,1]
	v_pk_add_f16 v2, v45, v2
	v_pk_mul_f16 v45, 0xba623bb2, v47 op_sel_hi:[1,0]
	v_add_f16_e32 v49, v11, v19
	v_pk_mul_f16 v46, 0xb8363b29, v48 op_sel_hi:[1,0]
	v_add_f16_e32 v51, v12, v20
	v_pk_add_f16 v2, v4, v2
	v_pk_fma_f16 v4, 0xb8d2b461, v60, v45 op_sel_hi:[1,0,1] neg_lo:[0,0,1] neg_hi:[0,0,1]
	s_delay_alu instid0(VALU_DEP_4) | instskip(NEXT) | instid1(VALU_DEP_3)
	v_pk_fma_f16 v63, 0xbacd3722, v49, v46 op_sel_hi:[1,0,1] neg_lo:[0,0,1] neg_hi:[0,0,1]
	v_pk_add_f16 v2, v2, v50
	v_sub_f16_e32 v50, v32, v31
	s_delay_alu instid0(VALU_DEP_2) | instskip(NEXT) | instid1(VALU_DEP_2)
	v_pk_add_f16 v4, v4, v2
	v_pk_mul_f16 v2, 0xb1e135c8, v50 op_sel_hi:[1,0]
	s_delay_alu instid0(VALU_DEP_2) | instskip(NEXT) | instid1(VALU_DEP_2)
	v_pk_add_f16 v4, v4, v63
	v_pk_fma_f16 v63, 0xbbdd3b76, v51, v2 op_sel_hi:[1,0,1] neg_lo:[0,0,1] neg_hi:[0,0,1]
	s_delay_alu instid0(VALU_DEP_1)
	v_pk_add_f16 v4, v63, v4
	s_and_saveexec_b32 s1, s0
	s_cbranch_execz .LBB0_13
; %bb.12:
	v_lshrrev_b32_e32 v69, 16, v20
	v_pack_b32_f16 v63, v54, v54
	v_pk_mul_f16 v54, 0x3b7639e9, v54 op_sel_hi:[1,0]
	v_pack_b32_f16 v65, v58, v58
	v_pk_mul_f16 v58, 0x39e92de8, v58 op_sel_hi:[1,0]
	v_add_f16_e32 v71, v69, v16
	v_pack_b32_f16 v66, v61, v61
	v_add_f16_e32 v86, v1, v54
	v_bfi_b32 v54, 0xffff, v12, v54
	v_pk_add_f16 v3, v3, v58
	v_add_f16_e32 v71, v71, v17
	v_pk_mul_f16 v61, 0x3722b8d2, v61 op_sel_hi:[1,0]
	v_add_f16_e32 v58, v69, v86
	v_pack_b32_f16 v53, v53, v53
	v_pack_b32_f16 v67, v62, v62
	v_add_f16_e32 v71, v71, v8
	v_pk_mul_f16 v62, 0x2de8bbdd, v62 op_sel_hi:[1,0]
	v_pk_add_f16 v42, v42, v61
	v_add_f16_e32 v58, v3, v58
	v_bfi_b32 v3, 0xffff, v19, v3
	v_add_f16_e32 v71, v71, v14
	v_pack_b32_f16 v52, v52, v52
	v_pack_b32_f16 v72, v49, v49
	v_pk_mul_f16 v49, 0xbacd3722, v49 op_sel_hi:[1,0]
	v_pk_mul_f16 v74, 0xb1e1b836, v53
	v_add_f16_e32 v71, v71, v15
	v_pk_mul_f16 v82, 0xba62bbb2, v53
	v_pk_mul_f16 v53, 0xbbf7bb29, v53
	v_pack_b32_f16 v68, v57, v57
	v_pk_mul_f16 v57, 0xb461bacd, v57 op_sel_hi:[1,0]
	v_add_f16_e32 v71, v71, v13
	v_pk_add_f16 v43, v43, v62
	v_add_f16_e32 v58, v42, v58
	v_perm_b32 v64, v20, v20, 0x7060302
	v_pack_b32_f16 v56, v56, v56
	v_add_f16_e32 v69, v71, v11
	v_pk_mul_f16 v75, 0x35c83b29, v52
	v_pk_mul_f16 v83, 0x3bb23836, v52
	;; [unrolled: 1-line block ×3, first 2 shown]
	v_pack_b32_f16 v70, v60, v60
	v_bfi_b32 v1, 0xffff, v69, v1
	v_pk_mul_f16 v60, 0xb8d2b461, v60 op_sel_hi:[1,0]
	v_pk_add_f16 v44, v44, v57
	v_add_f16_e32 v57, v43, v58
	v_pack_b32_f16 v59, v59, v59
	v_pk_add_f16 v1, v1, v54
	v_pk_mul_f16 v54, 0x3bb231e1, v56
	v_pk_add_f16 v45, v45, v60
	v_add_f16_e32 v57, v57, v44
	v_pack_b32_f16 v55, v55, v55
	v_pk_add_f16 v1, v1, v20
	v_pk_mul_f16 v76, 0xb836bbf7, v56
	v_pk_mul_f16 v84, 0xb5c83964, v56
	;; [unrolled: 1-line block ×3, first 2 shown]
	v_pack_b32_f16 v73, v51, v51
	v_pk_add_f16 v1, v1, v3
	v_bfi_b32 v3, 0xffff, v18, v42
	v_pk_add_f16 v42, v46, v49
	v_pk_fma_f16 v46, 0x2de83722, v63, v53
	v_add_f16_e32 v49, v45, v57
	v_pk_mul_f16 v51, 0xbbdd3b76, v51 op_sel_hi:[1,0]
	v_pk_add_f16 v1, v3, v1
	v_bfi_b32 v3, 0xffff, v21, v43
	v_pk_add_f16 v43, v64, v46
	v_pk_fma_f16 v46, 0xbbddb8d2, v65, v52
	v_pk_mul_f16 v78, 0xba62b5c8, v55
	v_pk_mul_f16 v87, 0x3bf7b1e1, v55
	v_pk_add_f16 v1, v3, v1
	v_bfi_b32 v3, 0xffff, v23, v44
	v_pk_add_f16 v43, v46, v43
	v_pk_fma_f16 v46, 0xb461bbdd, v66, v54
	v_pk_mul_f16 v55, 0xbb293964, v55
	v_pk_add_f16 v2, v2, v51
	v_pk_add_f16 v1, v3, v1
	v_bfi_b32 v3, 0xffff, v22, v45
	v_pk_fma_f16 v45, 0xb8d2b461, v63, v82
	v_pk_add_f16 v43, v46, v43
	v_pk_fma_f16 v46, 0x3b76b461, v67, v56
	v_pk_fma_f16 v51, 0xbbddbacd, v63, v74
	v_pk_add_f16 v1, v3, v1
	v_pk_add_f16 v3, v64, v45
	v_pk_fma_f16 v45, 0xb461bacd, v65, v83
	v_pk_add_f16 v43, v46, v43
	v_pk_fma_f16 v46, 0x372239e9, v68, v55
	v_pk_mul_f16 v85, 0xb836bb29, v59
	v_add_f16_e32 v49, v49, v42
	v_pk_add_f16 v3, v45, v3
	v_pk_fma_f16 v45, 0x3b7639e9, v66, v84
	v_bfi_b32 v42, 0xffff, v24, v42
	v_pk_add_f16 v43, v43, v46
	v_pk_add_f16 v46, v64, v51
	v_pk_fma_f16 v51, 0x3b763722, v65, v75
	v_pack_b32_f16 v47, v47, v47
	v_pk_add_f16 v3, v45, v3
	v_pk_fma_f16 v45, 0xbacd3722, v67, v85
	v_pk_mul_f16 v77, 0x39643a62, v59
	v_pk_add_f16 v1, v42, v1
	v_pk_add_f16 v42, v51, v46
	v_pk_fma_f16 v46, 0xbacd2de8, v66, v76
	v_pack_b32_f16 v48, v48, v48
	v_pk_mul_f16 v88, 0xb9643bf7, v47
	v_pk_add_f16 v3, v45, v3
	v_pk_fma_f16 v45, 0x2de8bbdd, v68, v87
	v_pk_add_f16 v42, v46, v42
	v_pk_fma_f16 v46, 0x39e9b8d2, v67, v77
	v_pk_mul_f16 v71, 0xb1e1b5c8, v48
	v_pk_mul_f16 v79, 0x3b29b1e1, v47
	v_pk_add_f16 v3, v3, v45
	v_pk_fma_f16 v45, 0x39e92de8, v70, v88
	v_add_f16_e32 v49, v2, v49
	v_bfi_b32 v2, 0xffff, v25, v2
	v_pk_add_f16 v42, v46, v42
	v_pk_fma_f16 v46, 0xb8d23b76, v68, v78
	v_pk_mul_f16 v47, 0xb836b5c8, v47
	v_pk_add_f16 v3, v45, v3
	v_pk_fma_f16 v45, 0xbbdd3b76, v72, v71
	v_pk_add_f16 v1, v2, v1
	v_pk_add_f16 v2, v42, v46
	v_pk_fma_f16 v46, 0x3722bbdd, v70, v79
	v_pk_fma_f16 v57, 0xbacd3b76, v70, v47
	v_pk_add_f16 v3, v3, v45
	v_pk_fma_f16 v45, 0xbbddbacd, v63, v74 neg_lo:[0,0,1] neg_hi:[0,0,1]
	v_pk_fma_f16 v53, 0x2de83722, v63, v53 neg_lo:[0,0,1] neg_hi:[0,0,1]
	v_pk_add_f16 v2, v46, v2
	v_pk_fma_f16 v46, 0xb8d2b461, v63, v82 neg_lo:[0,0,1] neg_hi:[0,0,1]
	v_pk_add_f16 v43, v57, v43
	v_pk_add_f16 v45, v64, v45
	v_pk_fma_f16 v57, 0x3b763722, v65, v75 neg_lo:[0,0,1] neg_hi:[0,0,1]
	v_pk_fma_f16 v58, 0xb461bacd, v65, v83 neg_lo:[0,0,1] neg_hi:[0,0,1]
	v_pk_add_f16 v46, v64, v46
	v_pk_add_f16 v53, v64, v53
	v_pk_fma_f16 v52, 0xbbddb8d2, v65, v52 neg_lo:[0,0,1] neg_hi:[0,0,1]
	v_pk_add_f16 v45, v57, v45
	v_pk_fma_f16 v57, 0xbacd2de8, v66, v76 neg_lo:[0,0,1] neg_hi:[0,0,1]
	;; [unrolled: 2-line block ×7, first 2 shown]
	v_pack_b32_f16 v50, v50, v50
	v_pk_mul_f16 v80, 0xbbb23964, v48
	v_pk_mul_f16 v48, 0x3a62bbf7, v48
	v_pk_add_f16 v45, v54, v45
	v_pk_fma_f16 v54, 0xb8d23b76, v68, v78 neg_lo:[0,0,1] neg_hi:[0,0,1]
	v_pk_add_f16 v46, v57, v46
	v_pk_fma_f16 v56, 0x2de8bbdd, v68, v87 neg_lo:[0,0,1] neg_hi:[0,0,1]
	;; [unrolled: 2-line block ×3, first 2 shown]
	v_pk_mul_f16 v44, 0x3964b836, v50
	v_pk_fma_f16 v51, 0xb8d22de8, v72, v48
	v_pk_add_f16 v45, v45, v54
	v_pk_fma_f16 v54, 0x3722bbdd, v70, v79 neg_lo:[0,0,1] neg_hi:[0,0,1]
	v_pk_add_f16 v46, v46, v56
	v_pk_fma_f16 v55, 0x39e92de8, v70, v88 neg_lo:[0,0,1] neg_hi:[0,0,1]
	;; [unrolled: 2-line block ×3, first 2 shown]
	v_pk_mul_f16 v81, 0x3bf7bbb2, v50
	v_pk_add_f16 v43, v43, v51
	v_pk_fma_f16 v51, 0x39e9bacd, v73, v44
	v_pk_add_f16 v45, v54, v45
	v_pk_fma_f16 v53, 0xb46139e9, v72, v80 neg_lo:[0,0,1] neg_hi:[0,0,1]
	v_pk_mul_f16 v86, 0x3b29ba62, v50
	v_pk_add_f16 v46, v55, v46
	v_pk_fma_f16 v54, 0xbbdd3b76, v72, v71 neg_lo:[0,0,1] neg_hi:[0,0,1]
	v_pk_add_f16 v47, v47, v52
	v_pk_fma_f16 v48, 0xb8d22de8, v72, v48 neg_lo:[0,0,1] neg_hi:[0,0,1]
	v_pk_add_f16 v42, v51, v43
	v_pk_fma_f16 v51, 0xb46139e9, v72, v80
	v_pk_add_f16 v45, v45, v53
	v_pk_fma_f16 v52, 0x2de8b461, v73, v81 neg_lo:[0,0,1] neg_hi:[0,0,1]
	v_pk_add_f16 v46, v46, v54
	v_pk_fma_f16 v53, 0x3722b8d2, v73, v86 neg_lo:[0,0,1] neg_hi:[0,0,1]
	;; [unrolled: 2-line block ×3, first 2 shown]
	v_pk_fma_f16 v43, 0x3722b8d2, v73, v86
	v_pk_add_f16 v2, v2, v51
	v_pk_fma_f16 v48, 0x2de8b461, v73, v81
	v_pk_add_f16 v45, v52, v45
	v_pk_add_f16 v46, v53, v46
	;; [unrolled: 1-line block ×3, first 2 shown]
	v_mad_u32_u24 v50, v7, 34, 0
	v_pk_add_f16 v43, v43, v3
	v_pk_add_f16 v44, v48, v2
	v_alignbit_b32 v45, v45, v45, 16
	v_alignbit_b32 v2, v46, v46, 16
	;; [unrolled: 1-line block ×3, first 2 shown]
	ds_store_b32 v50, v1
	ds_store_b16 v50, v49 offset:4
	ds_store_b128 v50, v[42:45] offset:6
	ds_store_b96 v50, v[2:4] offset:22
.LBB0_13:
	s_wait_alu 0xfffe
	s_or_b32 exec_lo, exec_lo, s1
	v_sub_f16_e32 v48, v16, v25
	v_add_f16_e32 v49, v41, v0
	v_sub_f16_e32 v47, v17, v24
	v_add_f16_e32 v46, v40, v26
	v_sub_f16_e32 v52, v8, v22
	v_pk_mul_f16 v1, 0xb5c8b964, v48 op_sel_hi:[1,0]
	v_add_f16_e32 v45, v39, v27
	v_pk_mul_f16 v2, 0xb964bbf7, v47 op_sel_hi:[1,0]
	v_sub_f16_e32 v50, v14, v23
	v_pk_mul_f16 v42, 0xbb29ba62, v52 op_sel_hi:[1,0]
	v_pk_fma_f16 v3, 0x3b7639e9, v49, v1 op_sel_hi:[1,0,1]
	v_add_f16_e32 v51, v38, v28
	v_pk_fma_f16 v8, 0x39e92de8, v46, v2 op_sel_hi:[1,0,1]
	v_sub_f16_e32 v55, v15, v21
	v_sub_f16_e32 v58, v13, v18
	v_pk_add_f16 v3, v35, v3 op_sel_hi:[0,1]
	v_pk_mul_f16 v43, 0xbbf7b1e1, v50 op_sel_hi:[1,0]
	v_pk_fma_f16 v13, 0x3722b8d2, v45, v42 op_sel_hi:[1,0,1]
	v_add_f16_e32 v54, v37, v30
	v_pk_mul_f16 v44, 0xbbb23836, v55 op_sel_hi:[1,0]
	v_pk_add_f16 v3, v8, v3
	v_pk_fma_f16 v8, 0x2de8bbdd, v51, v43 op_sel_hi:[1,0,1]
	v_sub_f16_e32 v60, v11, v19
	v_sub_f16_e32 v61, v12, v20
	v_pk_fma_f16 v11, 0xb461bacd, v54, v44 op_sel_hi:[1,0,1]
	v_pk_add_f16 v3, v13, v3
	global_wb scope:SCOPE_SE
	s_wait_dscnt 0x0
	s_barrier_signal -1
	s_barrier_wait -1
	global_inv scope:SCOPE_SE
	v_pk_add_f16 v3, v8, v3
	v_lshl_add_u32 v8, v7, 1, 0
	v_add_f16_e32 v57, v36, v29
	v_pk_mul_f16 v53, 0xba623bb2, v58 op_sel_hi:[1,0]
	v_add_f16_e32 v59, v34, v33
	v_pk_add_f16 v3, v3, v11
	ds_load_u16 v17, v8 offset:1428
	ds_load_u16 v16, v8 offset:1666
	ds_load_u16 v15, v8
	ds_load_u16 v14, v8 offset:238
	ds_load_u16 v12, v8 offset:476
	;; [unrolled: 1-line block ×12, first 2 shown]
	v_pk_mul_f16 v56, 0xb8363b29, v60 op_sel_hi:[1,0]
	v_pk_fma_f16 v62, 0xb8d2b461, v57, v53 op_sel_hi:[1,0,1]
	v_add_f16_e32 v63, v32, v31
	s_add_nc_u64 s[2:3], s[14:15], s[2:3]
	global_wb scope:SCOPE_SE
	s_wait_dscnt 0x0
	v_pk_fma_f16 v64, 0xbacd3722, v59, v56 op_sel_hi:[1,0,1]
	v_pk_add_f16 v3, v62, v3
	v_pk_mul_f16 v62, 0xb1e135c8, v61 op_sel_hi:[1,0]
	s_barrier_signal -1
	s_barrier_wait -1
	global_inv scope:SCOPE_SE
	v_pk_add_f16 v3, v3, v64
	v_pk_fma_f16 v64, 0xbbdd3b76, v63, v62 op_sel_hi:[1,0,1]
	s_delay_alu instid0(VALU_DEP_1)
	v_pk_add_f16 v3, v64, v3
	s_and_saveexec_b32 s1, s0
	s_cbranch_execz .LBB0_15
; %bb.14:
	v_add_f16_e32 v41, v35, v41
	v_pack_b32_f16 v64, v49, v49
	v_pk_mul_f16 v49, 0x3b7639e9, v49 op_sel_hi:[1,0]
	v_pack_b32_f16 v48, v48, v48
	v_perm_b32 v35, v35, v35, 0x5040100
	v_add_f16_e32 v40, v41, v40
	v_pack_b32_f16 v41, v46, v46
	v_pk_mul_f16 v46, 0x39e92de8, v46 op_sel_hi:[1,0]
	v_pk_add_f16 v1, v49, v1 neg_lo:[0,1] neg_hi:[0,1]
	v_pack_b32_f16 v47, v47, v47
	v_add_f16_e32 v39, v40, v39
	v_pk_mul_f16 v40, 0x3722b8d2, v45 op_sel_hi:[1,0]
	v_pk_add_f16 v2, v46, v2 neg_lo:[0,1] neg_hi:[0,1]
	v_pk_add_f16 v1, v35, v1
	v_pack_b32_f16 v65, v45, v45
	v_add_f16_e32 v38, v39, v38
	v_pack_b32_f16 v39, v50, v50
	v_pack_b32_f16 v50, v54, v54
	v_pk_mul_f16 v54, 0xb461bacd, v54 op_sel_hi:[1,0]
	v_pk_add_f16 v40, v40, v42 neg_lo:[0,1] neg_hi:[0,1]
	v_add_f16_e32 v37, v38, v37
	v_pack_b32_f16 v45, v52, v52
	v_pack_b32_f16 v52, v51, v51
	v_pk_add_f16 v42, v54, v44 neg_lo:[0,1] neg_hi:[0,1]
	v_pk_mul_f16 v44, 0xbbf7bb29, v48
	v_add_f16_e32 v36, v37, v36
	v_pk_mul_f16 v51, 0x2de8bbdd, v51 op_sel_hi:[1,0]
	v_pk_add_f16 v1, v2, v1
	v_pack_b32_f16 v55, v55, v55
	v_pk_fma_f16 v46, 0x2de83722, v64, v44 neg_lo:[0,0,1] neg_hi:[0,0,1]
	v_add_f16_e32 v34, v36, v34
	v_pack_b32_f16 v38, v57, v57
	v_pk_add_f16 v1, v40, v1
	v_pk_mul_f16 v57, 0xb8d2b461, v57 op_sel_hi:[1,0]
	v_pk_add_f16 v46, v35, v46
	v_add_f16_e32 v32, v34, v32
	v_pk_add_f16 v34, v51, v43 neg_lo:[0,1] neg_hi:[0,1]
	v_pack_b32_f16 v58, v58, v58
	v_pk_mul_f16 v37, 0xbacd3722, v59 op_sel_hi:[1,0]
	v_pk_add_f16 v43, v57, v53 neg_lo:[0,1] neg_hi:[0,1]
	v_add_f16_e32 v31, v32, v31
	v_pk_add_f16 v1, v34, v1
	v_pack_b32_f16 v66, v59, v59
	v_pack_b32_f16 v59, v60, v60
	v_pack_b32_f16 v60, v63, v63
	v_add_f16_e32 v2, v31, v33
	v_pk_mul_f16 v31, 0xb1e1ba62, v47
	v_pk_mul_f16 v33, 0x3bb231e1, v45
	v_pk_add_f16 v1, v1, v42
	v_pk_mul_f16 v63, 0xbbdd3b76, v63 op_sel_hi:[1,0]
	v_add_f16_e32 v2, v29, v2
	v_pk_fma_f16 v40, 0xbbddb8d2, v41, v31 neg_lo:[0,0,1] neg_hi:[0,0,1]
	v_pk_mul_f16 v29, 0x35c83bb2, v39
	v_pk_fma_f16 v34, 0xb461bbdd, v65, v33 neg_lo:[0,0,1] neg_hi:[0,0,1]
	v_pk_add_f16 v32, v37, v56 neg_lo:[0,1] neg_hi:[0,1]
	v_add_f16_e32 v2, v30, v2
	v_pk_add_f16 v40, v40, v46
	v_pk_mul_f16 v30, 0xbb293964, v55
	v_pk_fma_f16 v42, 0x3b76b461, v52, v29 neg_lo:[0,0,1] neg_hi:[0,0,1]
	v_pk_add_f16 v1, v43, v1
	v_add_f16_e32 v2, v28, v2
	v_pk_add_f16 v34, v34, v40
	v_pk_mul_f16 v28, 0xb836b5c8, v58
	v_pk_fma_f16 v40, 0x372239e9, v50, v30 neg_lo:[0,0,1] neg_hi:[0,0,1]
	v_pk_add_f16 v37, v63, v62 neg_lo:[0,1] neg_hi:[0,1]
	v_add_f16_e32 v2, v27, v2
	v_pk_add_f16 v34, v42, v34
	v_pk_mul_f16 v27, 0xba62bbb2, v48
	v_pk_add_f16 v1, v1, v32
	v_pk_fma_f16 v32, 0xbacd3b76, v38, v28 neg_lo:[0,0,1] neg_hi:[0,0,1]
	v_add_f16_e32 v2, v26, v2
	v_pk_fma_f16 v26, 0x2de83722, v64, v44
	v_pk_add_f16 v34, v34, v40
	v_pk_add_f16 v1, v37, v1
	v_pk_mul_f16 v40, 0xb5c83964, v45
	v_add_f16_e32 v37, v0, v2
	v_pk_add_f16 v0, v35, v26
	v_pk_fma_f16 v2, 0xbbddb8d2, v41, v31
	v_pk_add_f16 v26, v32, v34
	v_pk_fma_f16 v31, 0xb8d2b461, v64, v27 neg_lo:[0,0,1] neg_hi:[0,0,1]
	v_pk_mul_f16 v32, 0x3bb23836, v47
	v_pk_mul_f16 v34, 0x3a62bbf7, v59
	v_pk_add_f16 v0, v2, v0
	v_pk_fma_f16 v2, 0xb461bbdd, v65, v33
	v_pk_add_f16 v31, v35, v31
	v_pk_fma_f16 v33, 0xb461bacd, v41, v32 neg_lo:[0,0,1] neg_hi:[0,0,1]
	v_pack_b32_f16 v36, v61, v61
	v_pk_fma_f16 v42, 0xb8d22de8, v66, v34 neg_lo:[0,0,1] neg_hi:[0,0,1]
	v_pk_add_f16 v0, v2, v0
	v_pk_fma_f16 v2, 0x3b76b461, v52, v29
	v_pk_add_f16 v29, v33, v31
	v_pk_fma_f16 v31, 0x3b7639e9, v65, v40 neg_lo:[0,0,1] neg_hi:[0,0,1]
	v_pk_mul_f16 v33, 0xb836bb29, v39
	v_pk_add_f16 v26, v26, v42
	v_pk_add_f16 v0, v2, v0
	v_pk_fma_f16 v2, 0x372239e9, v50, v30
	v_pk_add_f16 v29, v31, v29
	v_pk_fma_f16 v30, 0xbacd3722, v52, v33 neg_lo:[0,0,1] neg_hi:[0,0,1]
	v_pk_mul_f16 v31, 0x3bf7b1e1, v55
	v_pk_mul_f16 v42, 0x3964b836, v36
	v_pk_add_f16 v0, v0, v2
	v_pk_fma_f16 v2, 0xbacd3b76, v38, v28
	v_pk_add_f16 v28, v30, v29
	v_pk_fma_f16 v29, 0x2de8bbdd, v50, v31 neg_lo:[0,0,1] neg_hi:[0,0,1]
	v_pk_mul_f16 v30, 0xb9643bf7, v58
	v_pk_fma_f16 v44, 0xb8d2b461, v64, v27
	v_pk_add_f16 v0, v2, v0
	v_pk_fma_f16 v2, 0xb8d22de8, v66, v34
	v_pk_add_f16 v28, v28, v29
	v_pk_fma_f16 v29, 0x39e92de8, v38, v30 neg_lo:[0,0,1] neg_hi:[0,0,1]
	v_pk_fma_f16 v43, 0x39e9bacd, v60, v42 neg_lo:[0,0,1] neg_hi:[0,0,1]
	v_pk_mul_f16 v45, 0xb836bbf7, v45
	v_pk_add_f16 v0, v0, v2
	v_pk_fma_f16 v33, 0xbacd3722, v52, v33
	v_pk_add_f16 v2, v29, v28
	v_pk_add_f16 v28, v35, v44
	v_pk_fma_f16 v29, 0xb461bacd, v41, v32
	v_pk_fma_f16 v32, 0x39e9bacd, v60, v42
	v_pk_mul_f16 v42, 0xb1e1b836, v48
	v_pk_add_f16 v27, v43, v26
	v_pk_mul_f16 v43, 0x35c83b29, v47
	v_pk_add_f16 v28, v29, v28
	v_pk_fma_f16 v29, 0x3b7639e9, v65, v40
	v_pk_fma_f16 v40, 0xbbddbacd, v64, v42 neg_lo:[0,0,1] neg_hi:[0,0,1]
	v_pk_fma_f16 v42, 0xbbddbacd, v64, v42
	v_pk_mul_f16 v39, 0x39643a62, v39
	v_pk_mul_f16 v34, 0xb1e1b5c8, v59
	v_pk_add_f16 v28, v29, v28
	v_pk_add_f16 v29, v35, v40
	v_pk_fma_f16 v40, 0x3b763722, v41, v43 neg_lo:[0,0,1] neg_hi:[0,0,1]
	v_pk_add_f16 v35, v35, v42
	v_pk_fma_f16 v41, 0x3b763722, v41, v43
	v_pk_add_f16 v28, v33, v28
	v_pk_fma_f16 v33, 0x39e9b8d2, v52, v39 neg_lo:[0,0,1] neg_hi:[0,0,1]
	v_pk_add_f16 v29, v40, v29
	v_pk_fma_f16 v40, 0xbacd2de8, v65, v45 neg_lo:[0,0,1] neg_hi:[0,0,1]
	v_pk_add_f16 v35, v41, v35
	v_pk_fma_f16 v41, 0xbacd2de8, v65, v45
	v_pk_fma_f16 v39, 0x39e9b8d2, v52, v39
	;; [unrolled: 1-line block ×3, first 2 shown]
	v_pk_add_f16 v29, v40, v29
	v_pk_mul_f16 v40, 0xba62b5c8, v55
	v_pk_add_f16 v35, v41, v35
	v_pk_mul_f16 v41, 0x3b29b1e1, v58
	v_pk_fma_f16 v26, 0xbbdd3b76, v66, v34 neg_lo:[0,0,1] neg_hi:[0,0,1]
	v_pk_add_f16 v29, v33, v29
	v_pk_fma_f16 v33, 0xb8d23b76, v50, v40 neg_lo:[0,0,1] neg_hi:[0,0,1]
	v_pk_add_f16 v35, v39, v35
	v_pk_fma_f16 v39, 0xb8d23b76, v50, v40
	v_pk_add_f16 v28, v28, v31
	v_pk_fma_f16 v30, 0x39e92de8, v38, v30
	v_pk_add_f16 v29, v29, v33
	v_pk_fma_f16 v31, 0x3722bbdd, v38, v41 neg_lo:[0,0,1] neg_hi:[0,0,1]
	v_pk_add_f16 v33, v35, v39
	v_pk_fma_f16 v35, 0x3722bbdd, v38, v41
	v_pk_mul_f16 v38, 0xbbb23964, v59
	v_pk_add_f16 v2, v2, v26
	v_pk_mul_f16 v26, 0x3b29ba62, v36
	v_pk_add_f16 v28, v30, v28
	v_pk_fma_f16 v30, 0xbbdd3b76, v66, v34
	v_pk_add_f16 v29, v31, v29
	v_pk_add_f16 v31, v35, v33
	v_pk_fma_f16 v33, 0xb46139e9, v66, v38
	v_pk_mul_f16 v34, 0x3bf7bbb2, v36
	v_pk_fma_f16 v35, 0xb46139e9, v66, v38 neg_lo:[0,0,1] neg_hi:[0,0,1]
	v_pk_fma_f16 v44, 0x3722b8d2, v60, v26 neg_lo:[0,0,1] neg_hi:[0,0,1]
	v_pk_add_f16 v30, v28, v30
	v_pk_fma_f16 v26, 0x3722b8d2, v60, v26
	v_pk_add_f16 v31, v31, v33
	v_pk_fma_f16 v33, 0x2de8b461, v60, v34
	v_pk_add_f16 v29, v29, v35
	v_pk_fma_f16 v34, 0x2de8b461, v60, v34 neg_lo:[0,0,1] neg_hi:[0,0,1]
	v_pk_add_f16 v32, v32, v0
	v_pk_add_f16 v28, v44, v2
	;; [unrolled: 1-line block ×4, first 2 shown]
	v_lshl_add_u32 v30, v7, 5, v8
	v_pk_add_f16 v29, v34, v29
	v_alignbit_b32 v26, v1, v1, 16
	v_alignbit_b32 v0, v0, v0, 16
	;; [unrolled: 1-line block ×4, first 2 shown]
	ds_store_b16 v30, v37
	ds_store_b128 v30, v[26:29] offset:2
	ds_store_b128 v30, v[0:3] offset:18
.LBB0_15:
	s_wait_alu 0xfffe
	s_or_b32 exec_lo, exec_lo, s1
	v_add_nc_u32_e32 v0, 0x77, v7
	v_and_b32_e32 v1, 0xff, v7
	v_add_nc_u32_e32 v2, 0xee, v7
	v_add_nc_u32_e32 v26, 0x165, v7
	;; [unrolled: 1-line block ×3, first 2 shown]
	v_and_b32_e32 v36, 0xff, v0
	v_mul_lo_u16 v28, 0xf1, v1
	v_and_b32_e32 v38, 0xffff, v2
	v_and_b32_e32 v29, 0xffff, v26
	;; [unrolled: 1-line block ×3, first 2 shown]
	s_load_b64 s[2:3], s[2:3], 0x0
	v_lshrrev_b16 v37, 12, v28
	v_mul_lo_u16 v28, 0xf1, v36
	v_mul_u32_u24_e32 v32, 0xf0f1, v38
	global_wb scope:SCOPE_SE
	s_wait_dscnt 0x0
	s_wait_kmcnt 0x0
	s_barrier_signal -1
	v_mul_lo_u16 v31, v37, 17
	v_lshrrev_b16 v39, 12, v28
	v_mul_u32_u24_e32 v28, 0xf0f1, v29
	v_mul_u32_u24_e32 v29, 0xf0f1, v30
	v_lshrrev_b32_e32 v40, 20, v32
	v_sub_nc_u16 v30, v7, v31
	v_mul_lo_u16 v31, v39, 17
	v_lshrrev_b32_e32 v41, 20, v28
	v_lshrrev_b32_e32 v42, 20, v29
	v_mul_lo_u16 v28, v40, 17
	v_and_b32_e32 v43, 0xff, v30
	v_sub_nc_u16 v29, v0, v31
	v_mul_lo_u16 v30, v41, 17
	v_mul_lo_u16 v31, v42, 17
	v_sub_nc_u16 v28, v2, v28
	v_lshlrev_b32_e32 v32, 3, v43
	v_and_b32_e32 v44, 0xff, v29
	v_sub_nc_u16 v29, v26, v30
	v_sub_nc_u16 v30, v27, v31
	v_and_b32_e32 v45, 0xffff, v28
	s_barrier_wait -1
	v_lshlrev_b32_e32 v28, 3, v44
	v_and_b32_e32 v46, 0xffff, v29
	v_and_b32_e32 v47, 0xffff, v30
	global_inv scope:SCOPE_SE
	s_clause 0x1
	global_load_b64 v[26:27], v32, s[4:5]
	global_load_b64 v[28:29], v28, s[4:5]
	v_lshlrev_b32_e32 v30, 3, v45
	v_lshlrev_b32_e32 v32, 3, v46
	;; [unrolled: 1-line block ×3, first 2 shown]
	s_clause 0x2
	global_load_b64 v[30:31], v30, s[4:5]
	global_load_b64 v[32:33], v32, s[4:5]
	;; [unrolled: 1-line block ×3, first 2 shown]
	ds_load_u16 v48, v8 offset:1428
	ds_load_u16 v49, v8 offset:1666
	ds_load_u16 v50, v8
	ds_load_u16 v51, v8 offset:238
	ds_load_u16 v52, v8 offset:476
	;; [unrolled: 1-line block ×12, first 2 shown]
	v_and_b32_e32 v39, 0xffff, v39
	v_mul_u32_u24_e32 v40, 0x66, v40
	v_lshlrev_b32_e32 v44, 1, v44
	v_lshlrev_b32_e32 v45, 1, v45
	v_mul_u32_u24_e32 v41, 0x66, v41
	v_mul_u32_u24_e32 v39, 0x66, v39
	;; [unrolled: 1-line block ×3, first 2 shown]
	v_lshlrev_b32_e32 v46, 1, v46
	v_lshlrev_b32_e32 v47, 1, v47
	v_add3_u32 v40, 0, v40, v45
	v_add3_u32 v39, 0, v39, v44
	v_mul_lo_u16 v1, 0xa1, v1
	v_mul_lo_u16 v36, 0xa1, v36
	v_add3_u32 v41, 0, v41, v46
	v_add3_u32 v42, 0, v42, v47
	v_mul_u32_u24_e32 v38, 0xa0a1, v38
	v_lshrrev_b16 v1, 13, v1
	v_lshrrev_b16 v36, 13, v36
	v_and_b32_e32 v37, 0xffff, v37
	v_lshlrev_b32_e32 v43, 1, v43
	v_lshrrev_b32_e32 v38, 21, v38
	v_mul_lo_u16 v63, v1, 51
	v_mul_lo_u16 v64, v36, 51
	v_mul_u32_u24_e32 v37, 0x66, v37
	global_wb scope:SCOPE_SE
	s_wait_loadcnt_dscnt 0x0
	v_mul_lo_u16 v65, v38, 51
	v_sub_nc_u16 v63, v7, v63
	v_sub_nc_u16 v64, v0, v64
	v_add3_u32 v37, 0, v37, v43
	s_barrier_signal -1
	v_sub_nc_u16 v65, v2, v65
	v_and_b32_e32 v63, 0xff, v63
	v_and_b32_e32 v64, 0xff, v64
	s_barrier_wait -1
	global_inv scope:SCOPE_SE
	v_and_b32_e32 v65, 0xffff, v65
	v_lshlrev_b32_e32 v66, 4, v63
	v_lshlrev_b32_e32 v43, 4, v64
	v_and_b32_e32 v1, 0xffff, v1
	v_cmp_gt_u32_e64 s0, 17, v7
	s_delay_alu instid0(VALU_DEP_2) | instskip(SKIP_4) | instid1(VALU_DEP_4)
	v_mul_u32_u24_e32 v1, 0x1fe, v1
	v_lshrrev_b32_e32 v44, 16, v26
	v_lshrrev_b32_e32 v45, 16, v27
	;; [unrolled: 1-line block ×4, first 2 shown]
	v_mul_f16_e32 v46, v55, v44
	v_mul_f16_e32 v44, v24, v44
	;; [unrolled: 1-line block ×4, first 2 shown]
	v_lshrrev_b32_e32 v69, 16, v30
	v_lshrrev_b32_e32 v70, 16, v31
	;; [unrolled: 1-line block ×6, first 2 shown]
	v_fmac_f16_e32 v46, v24, v26
	v_fma_f16 v24, v55, v26, -v44
	v_fmac_f16_e32 v47, v25, v27
	v_fma_f16 v25, v61, v27, -v45
	v_mul_f16_e32 v26, v48, v67
	v_mul_f16_e32 v27, v17, v67
	;; [unrolled: 1-line block ×16, first 2 shown]
	v_fmac_f16_e32 v26, v17, v28
	v_fma_f16 v17, v48, v28, -v27
	v_fmac_f16_e32 v44, v23, v29
	v_fma_f16 v23, v57, v29, -v45
	;; [unrolled: 2-line block ×3, first 2 shown]
	v_fmac_f16_e32 v67, v22, v31
	v_fmac_f16_e32 v69, v18, v32
	v_fmac_f16_e32 v71, v20, v33
	v_fmac_f16_e32 v75, v21, v34
	v_fmac_f16_e32 v76, v19, v35
	v_add_f16_e32 v28, v46, v47
	v_add_f16_e32 v30, v50, v24
	v_fma_f16 v22, v58, v31, -v68
	v_fma_f16 v18, v54, v32, -v70
	;; [unrolled: 1-line block ×5, first 2 shown]
	v_sub_f16_e32 v29, v24, v25
	v_add_f16_e32 v24, v24, v25
	v_add_f16_e32 v27, v15, v46
	v_fmac_f16_e32 v15, -0.5, v28
	v_add_f16_e32 v25, v30, v25
	v_add_f16_e32 v28, v26, v44
	v_sub_f16_e32 v30, v17, v23
	v_add_f16_e32 v32, v51, v17
	v_add_f16_e32 v17, v17, v23
	;; [unrolled: 1-line block ×5, first 2 shown]
	v_sub_f16_e32 v35, v16, v22
	v_add_f16_e32 v45, v52, v16
	v_add_f16_e32 v16, v16, v22
	v_sub_f16_e32 v49, v18, v20
	v_add_f16_e32 v54, v53, v18
	v_add_f16_e32 v18, v18, v20
	;; [unrolled: 3-line block ×3, first 2 shown]
	v_sub_f16_e32 v31, v46, v47
	v_fmac_f16_e32 v50, -0.5, v24
	v_add_f16_e32 v24, v14, v26
	v_add_f16_e32 v27, v27, v47
	v_sub_f16_e32 v26, v26, v44
	v_add_f16_e32 v33, v12, v55
	v_add_f16_e32 v47, v11, v69
	;; [unrolled: 1-line block ×3, first 2 shown]
	v_fmac_f16_e32 v14, -0.5, v28
	v_fmac_f16_e32 v51, -0.5, v17
	;; [unrolled: 1-line block ×5, first 2 shown]
	v_sub_f16_e32 v46, v55, v67
	v_sub_f16_e32 v55, v69, v71
	;; [unrolled: 1-line block ×3, first 2 shown]
	v_fmac_f16_e32 v52, -0.5, v16
	v_fmac_f16_e32 v53, -0.5, v18
	;; [unrolled: 1-line block ×3, first 2 shown]
	v_fmamk_f16 v62, v29, 0xbaee, v15
	v_fmac_f16_e32 v15, 0x3aee, v29
	v_fmamk_f16 v29, v31, 0x3aee, v50
	v_fmac_f16_e32 v50, 0xbaee, v31
	v_add_f16_e32 v24, v24, v44
	v_add_f16_e32 v23, v32, v23
	;; [unrolled: 1-line block ×6, first 2 shown]
	v_fmamk_f16 v21, v30, 0xbaee, v14
	v_fmac_f16_e32 v14, 0x3aee, v30
	v_fmamk_f16 v28, v26, 0x3aee, v51
	v_fmac_f16_e32 v51, 0xbaee, v26
	;; [unrolled: 2-line block ×5, first 2 shown]
	v_add_f16_e32 v22, v45, v22
	v_add_f16_e32 v20, v54, v20
	v_fmamk_f16 v30, v46, 0x3aee, v52
	v_fmac_f16_e32 v52, 0xbaee, v46
	v_fmamk_f16 v32, v55, 0x3aee, v53
	v_fmac_f16_e32 v53, 0xbaee, v55
	;; [unrolled: 2-line block ×3, first 2 shown]
	ds_store_b16 v37, v27
	ds_store_b16 v37, v62 offset:34
	ds_store_b16 v37, v15 offset:68
	ds_store_b16 v39, v24
	ds_store_b16 v39, v21 offset:34
	ds_store_b16 v39, v14 offset:68
	;; [unrolled: 3-line block ×5, first 2 shown]
	global_wb scope:SCOPE_SE
	s_wait_dscnt 0x0
	s_barrier_signal -1
	s_barrier_wait -1
	global_inv scope:SCOPE_SE
	ds_load_u16 v15, v8
	ds_load_u16 v17, v8 offset:238
	ds_load_u16 v16, v8 offset:952
	;; [unrolled: 1-line block ×14, first 2 shown]
	global_wb scope:SCOPE_SE
	s_wait_dscnt 0x0
	s_barrier_signal -1
	s_barrier_wait -1
	global_inv scope:SCOPE_SE
	ds_store_b16 v37, v25
	ds_store_b16 v37, v29 offset:34
	ds_store_b16 v37, v50 offset:68
	ds_store_b16 v39, v23
	ds_store_b16 v39, v28 offset:34
	ds_store_b16 v39, v51 offset:68
	;; [unrolled: 3-line block ×5, first 2 shown]
	global_wb scope:SCOPE_SE
	s_wait_dscnt 0x0
	s_barrier_signal -1
	s_barrier_wait -1
	global_inv scope:SCOPE_SE
	global_load_b128 v[11:14], v66, s[4:5] offset:136
	v_lshlrev_b32_e32 v19, 4, v65
	s_clause 0x1
	global_load_b128 v[24:27], v43, s[4:5] offset:136
	global_load_b128 v[28:31], v19, s[4:5] offset:136
	v_and_b32_e32 v19, 0xffff, v36
	v_mul_u32_u24_e32 v22, 0x1fe, v38
	v_lshlrev_b32_e32 v20, 1, v63
	v_lshlrev_b32_e32 v23, 1, v64
	;; [unrolled: 1-line block ×3, first 2 shown]
	v_mul_u32_u24_e32 v19, 0x1fe, v19
	s_delay_alu instid0(VALU_DEP_4) | instskip(NEXT) | instid1(VALU_DEP_3)
	v_add3_u32 v20, 0, v1, v20
	v_add3_u32 v1, 0, v22, v32
	s_delay_alu instid0(VALU_DEP_3)
	v_add3_u32 v19, 0, v19, v23
	ds_load_u16 v35, v8
	ds_load_u16 v22, v8 offset:238
	ds_load_u16 v32, v8 offset:952
	;; [unrolled: 1-line block ×14, first 2 shown]
	global_wb scope:SCOPE_SE
	s_wait_loadcnt_dscnt 0x0
	s_barrier_signal -1
	s_barrier_wait -1
	global_inv scope:SCOPE_SE
	v_lshrrev_b32_e32 v37, 16, v12
	v_lshrrev_b32_e32 v42, 16, v13
	;; [unrolled: 1-line block ×12, first 2 shown]
	v_mul_f16_e32 v54, v39, v37
	v_mul_f16_e32 v56, v51, v42
	;; [unrolled: 1-line block ×19, first 2 shown]
	v_fmac_f16_e32 v54, v33, v12
	v_fmac_f16_e32 v56, v67, v13
	;; [unrolled: 1-line block ×4, first 2 shown]
	v_mul_f16_e32 v79, v46, v55
	v_mul_f16_e32 v80, v59, v57
	v_fmac_f16_e32 v49, v16, v24
	v_fmac_f16_e32 v47, v18, v25
	;; [unrolled: 1-line block ×4, first 2 shown]
	v_mul_f16_e32 v69, v68, v69
	v_mul_f16_e32 v70, v62, v70
	;; [unrolled: 1-line block ×3, first 2 shown]
	v_fmac_f16_e32 v42, v59, v28
	v_fmac_f16_e32 v36, v68, v29
	;; [unrolled: 1-line block ×4, first 2 shown]
	v_fma_f16 v55, v41, v11, -v72
	v_fma_f16 v57, v39, v12, -v73
	;; [unrolled: 1-line block ×3, first 2 shown]
	v_add_f16_e32 v12, v54, v56
	v_fma_f16 v51, v51, v13, -v74
	v_fma_f16 v16, v32, v24, -v76
	v_add_f16_e32 v24, v53, v58
	v_fma_f16 v44, v34, v25, -v77
	v_fma_f16 v45, v38, v26, -v78
	;; [unrolled: 1-line block ×4, first 2 shown]
	v_sub_f16_e32 v18, v53, v54
	v_sub_f16_e32 v21, v58, v56
	;; [unrolled: 1-line block ×4, first 2 shown]
	v_add_f16_e32 v28, v47, v48
	v_add_f16_e32 v33, v49, v50
	v_fma_f16 v40, v66, v29, -v69
	v_fma_f16 v41, v65, v30, -v70
	;; [unrolled: 1-line block ×3, first 2 shown]
	v_add_f16_e32 v11, v15, v53
	v_add_f16_e32 v62, v36, v37
	;; [unrolled: 1-line block ×3, first 2 shown]
	v_sub_f16_e32 v13, v55, v52
	v_add_f16_e32 v27, v17, v49
	v_sub_f16_e32 v34, v47, v49
	v_sub_f16_e32 v59, v48, v50
	v_fma_f16 v12, -0.5, v12, v15
	v_sub_f16_e32 v14, v57, v51
	v_fmac_f16_e32 v15, -0.5, v24
	v_sub_f16_e32 v29, v16, v46
	v_sub_f16_e32 v30, v44, v45
	v_add_f16_e32 v61, v60, v42
	v_add_f16_e32 v18, v18, v21
	;; [unrolled: 1-line block ×3, first 2 shown]
	v_fma_f16 v25, -0.5, v28, v17
	v_fmac_f16_e32 v17, -0.5, v33
	v_sub_f16_e32 v31, v49, v47
	v_sub_f16_e32 v32, v50, v48
	;; [unrolled: 1-line block ×6, first 2 shown]
	v_add_f16_e32 v70, v11, v54
	v_fma_f16 v11, -0.5, v62, v60
	v_fmac_f16_e32 v60, -0.5, v67
	v_add_f16_e32 v24, v27, v47
	v_add_f16_e32 v27, v34, v59
	v_fmamk_f16 v34, v13, 0xbb9c, v12
	v_fmamk_f16 v59, v14, 0x3b9c, v15
	v_fmac_f16_e32 v15, 0xbb9c, v14
	v_add_f16_e32 v28, v61, v36
	v_fmac_f16_e32 v12, 0x3b9c, v13
	v_fmamk_f16 v61, v29, 0xbb9c, v25
	v_fmac_f16_e32 v25, 0x3b9c, v29
	v_fmamk_f16 v62, v30, 0x3b9c, v17
	v_fmac_f16_e32 v17, 0xbb9c, v30
	v_sub_f16_e32 v68, v36, v42
	v_sub_f16_e32 v69, v37, v43
	v_add_f16_e32 v26, v31, v32
	v_add_f16_e32 v31, v65, v66
	;; [unrolled: 1-line block ×3, first 2 shown]
	v_fmamk_f16 v65, v63, 0xbb9c, v11
	v_fmac_f16_e32 v11, 0x3b9c, v63
	v_fmamk_f16 v66, v64, 0x3b9c, v60
	v_fmac_f16_e32 v60, 0xbb9c, v64
	v_fmac_f16_e32 v34, 0xb8b4, v14
	v_fmac_f16_e32 v59, 0xb8b4, v13
	v_fmac_f16_e32 v15, 0x38b4, v13
	v_fmac_f16_e32 v12, 0x38b4, v14
	v_fmac_f16_e32 v25, 0x38b4, v30
	v_fmac_f16_e32 v17, 0x38b4, v29
	v_add_f16_e32 v32, v68, v69
	v_add_f16_e32 v24, v24, v48
	;; [unrolled: 1-line block ×4, first 2 shown]
	v_fmac_f16_e32 v61, 0xb8b4, v30
	v_fmac_f16_e32 v62, 0xb8b4, v29
	;; [unrolled: 1-line block ×12, first 2 shown]
	v_add_f16_e32 v13, v24, v50
	v_add_f16_e32 v14, v28, v43
	v_fmac_f16_e32 v61, 0x34f2, v26
	v_fmac_f16_e32 v62, 0x34f2, v27
	;; [unrolled: 1-line block ×6, first 2 shown]
	ds_store_b16 v20, v33
	ds_store_b16 v20, v34 offset:102
	ds_store_b16 v20, v59 offset:204
	ds_store_b16 v20, v15 offset:306
	ds_store_b16 v20, v12 offset:408
	ds_store_b16 v19, v13
	ds_store_b16 v19, v61 offset:102
	ds_store_b16 v19, v62 offset:204
	ds_store_b16 v19, v17 offset:306
	ds_store_b16 v19, v25 offset:408
	;; [unrolled: 5-line block ×3, first 2 shown]
	global_wb scope:SCOPE_SE
	s_wait_dscnt 0x0
	s_barrier_signal -1
	s_barrier_wait -1
	global_inv scope:SCOPE_SE
	ds_load_u16 v17, v8
	ds_load_u16 v21, v8 offset:2040
	ds_load_u16 v30, v8 offset:1768
	;; [unrolled: 1-line block ×13, first 2 shown]
                                        ; implicit-def: $vgpr13
                                        ; implicit-def: $vgpr14
                                        ; implicit-def: $vgpr12
                                        ; implicit-def: $vgpr15
	s_and_saveexec_b32 s1, s0
	s_cbranch_execz .LBB0_17
; %bb.16:
	ds_load_u16 v4, v8 offset:986
	ds_load_u16 v11, v8 offset:476
	;; [unrolled: 1-line block ×4, first 2 shown]
	s_wait_dscnt 0x3
	ds_load_u16_d16_hi v4, v8 offset:1496
	ds_load_u16 v13, v8 offset:2516
	ds_load_u16 v14, v8 offset:3536
.LBB0_17:
	s_wait_alu 0xfffe
	s_or_b32 exec_lo, exec_lo, s1
	v_add_f16_e32 v59, v57, v51
	v_add_f16_e32 v60, v35, v55
	v_sub_f16_e32 v53, v53, v58
	v_sub_f16_e32 v54, v54, v56
	;; [unrolled: 1-line block ×3, first 2 shown]
	v_fma_f16 v58, -0.5, v59, v35
	v_sub_f16_e32 v59, v52, v51
	v_add_f16_e32 v61, v55, v52
	v_add_f16_e32 v60, v60, v57
	v_sub_f16_e32 v55, v57, v55
	v_fmamk_f16 v57, v53, 0x3b9c, v58
	v_add_f16_e32 v56, v56, v59
	v_fmac_f16_e32 v35, -0.5, v61
	v_add_f16_e32 v59, v60, v51
	v_fmac_f16_e32 v58, 0xbb9c, v53
	v_fmac_f16_e32 v57, 0x38b4, v54
	v_sub_f16_e32 v51, v51, v52
	v_fmamk_f16 v60, v54, 0xbb9c, v35
	v_add_f16_e32 v52, v59, v52
	v_fmac_f16_e32 v58, 0xb8b4, v54
	v_add_f16_e32 v59, v44, v45
	v_fmac_f16_e32 v35, 0x3b9c, v54
	v_add_f16_e32 v54, v22, v16
	v_add_f16_e32 v51, v55, v51
	v_sub_f16_e32 v49, v49, v50
	v_fma_f16 v55, -0.5, v59, v22
	v_fmac_f16_e32 v57, 0x34f2, v56
	v_add_f16_e32 v50, v54, v44
	v_fmac_f16_e32 v60, 0x38b4, v53
	v_fmac_f16_e32 v58, 0x34f2, v56
	;; [unrolled: 1-line block ×3, first 2 shown]
	v_fmamk_f16 v53, v49, 0x3b9c, v55
	v_sub_f16_e32 v47, v47, v48
	v_sub_f16_e32 v48, v16, v44
	;; [unrolled: 1-line block ×3, first 2 shown]
	v_fmac_f16_e32 v55, 0xbb9c, v49
	v_add_f16_e32 v56, v16, v46
	v_add_f16_e32 v50, v50, v45
	v_fmac_f16_e32 v53, 0x38b4, v47
	v_add_f16_e32 v48, v48, v54
	v_fmac_f16_e32 v55, 0xb8b4, v47
	v_fmac_f16_e32 v22, -0.5, v56
	v_add_f16_e32 v50, v50, v46
	v_sub_f16_e32 v44, v44, v16
	v_sub_f16_e32 v45, v45, v46
	v_add_f16_e32 v46, v23, v39
	v_fmac_f16_e32 v60, 0x34f2, v51
	v_fmac_f16_e32 v35, 0x34f2, v51
	;; [unrolled: 1-line block ×4, first 2 shown]
	v_fmamk_f16 v48, v47, 0xbb9c, v22
	v_add_f16_e32 v51, v40, v41
	v_fmac_f16_e32 v22, 0x3b9c, v47
	v_sub_f16_e32 v42, v42, v43
	v_add_f16_e32 v43, v44, v45
	v_add_f16_e32 v44, v46, v40
	;; [unrolled: 1-line block ×3, first 2 shown]
	v_fma_f16 v16, -0.5, v51, v23
	v_fmac_f16_e32 v48, 0x38b4, v49
	v_fmac_f16_e32 v22, 0xb8b4, v49
	v_sub_f16_e32 v36, v36, v37
	v_fmac_f16_e32 v23, -0.5, v46
	v_fmamk_f16 v45, v42, 0x3b9c, v16
	v_fmac_f16_e32 v48, 0x34f2, v43
	v_fmac_f16_e32 v22, 0x34f2, v43
	v_add_f16_e32 v37, v44, v41
	v_sub_f16_e32 v43, v39, v40
	v_sub_f16_e32 v44, v38, v41
	v_fmac_f16_e32 v16, 0xbb9c, v42
	v_fmamk_f16 v46, v36, 0xbb9c, v23
	v_sub_f16_e32 v39, v40, v39
	v_sub_f16_e32 v40, v41, v38
	v_fmac_f16_e32 v23, 0x3b9c, v36
	v_fmac_f16_e32 v45, 0x38b4, v36
	v_add_f16_e32 v41, v43, v44
	v_fmac_f16_e32 v16, 0xb8b4, v36
	v_fmac_f16_e32 v46, 0x38b4, v42
	v_add_f16_e32 v36, v39, v40
	v_fmac_f16_e32 v23, 0xb8b4, v42
	v_add_f16_e32 v37, v37, v38
	v_fmac_f16_e32 v45, 0x34f2, v41
	v_fmac_f16_e32 v16, 0x34f2, v41
	;; [unrolled: 1-line block ×4, first 2 shown]
	global_wb scope:SCOPE_SE
	s_wait_dscnt 0x0
	s_barrier_signal -1
	s_barrier_wait -1
	global_inv scope:SCOPE_SE
	ds_store_b16 v20, v52
	ds_store_b16 v20, v57 offset:102
	ds_store_b16 v20, v60 offset:204
	ds_store_b16 v20, v35 offset:306
	ds_store_b16 v20, v58 offset:408
	ds_store_b16 v19, v50
	ds_store_b16 v19, v53 offset:102
	ds_store_b16 v19, v48 offset:204
	ds_store_b16 v19, v22 offset:306
	ds_store_b16 v19, v55 offset:408
	;; [unrolled: 5-line block ×3, first 2 shown]
	global_wb scope:SCOPE_SE
	s_wait_dscnt 0x0
	s_barrier_signal -1
	s_barrier_wait -1
	global_inv scope:SCOPE_SE
	ds_load_u16 v35, v8
	ds_load_u16 v37, v8 offset:2040
	ds_load_u16 v44, v8 offset:1768
	;; [unrolled: 1-line block ×13, first 2 shown]
                                        ; implicit-def: $vgpr20
                                        ; implicit-def: $vgpr22
                                        ; implicit-def: $vgpr19
                                        ; implicit-def: $vgpr23
	s_and_saveexec_b32 s1, s0
	s_cbranch_execz .LBB0_19
; %bb.18:
	ds_load_u16 v3, v8 offset:986
	ds_load_u16 v16, v8 offset:476
	ds_load_u16 v23, v8 offset:2006
	ds_load_u16 v19, v8 offset:3026
	s_wait_dscnt 0x3
	ds_load_u16_d16_hi v3, v8 offset:1496
	ds_load_u16 v20, v8 offset:2516
	ds_load_u16 v22, v8 offset:3536
.LBB0_19:
	s_wait_alu 0xfffe
	s_or_b32 exec_lo, exec_lo, s1
	s_and_saveexec_b32 s1, vcc_lo
	s_cbranch_execz .LBB0_22
; %bb.20:
	v_mul_u32_u24_e32 v1, 6, v0
	v_mul_u32_u24_e32 v8, 6, v7
	v_mul_hi_u32 v61, 0x80808081, v0
	v_lshlrev_b64_e32 v[5:6], 2, v[5:6]
	s_delay_alu instid0(VALU_DEP_4) | instskip(NEXT) | instid1(VALU_DEP_3)
	v_lshlrev_b32_e32 v1, 2, v1
	v_lshrrev_b32_e32 v61, 7, v61
	s_clause 0x1
	global_load_b128 v[49:52], v1, s[4:5] offset:952
	global_load_b64 v[57:58], v1, s[4:5] offset:968
	v_lshlrev_b32_e32 v1, 2, v8
	v_mul_lo_u32 v8, s2, v10
	s_clause 0x1
	global_load_b128 v[53:56], v1, s[4:5] offset:952
	global_load_b64 v[59:60], v1, s[4:5] offset:968
	v_mul_lo_u32 v1, s3, v9
	v_mad_co_u64_u32 v[9:10], null, s2, v9, 0
	v_mul_u32_u24_e32 v61, 0x5fa, v61
	s_delay_alu instid0(VALU_DEP_2) | instskip(SKIP_1) | instid1(VALU_DEP_2)
	v_add3_u32 v10, v10, v8, v1
	v_mov_b32_e32 v8, 0
	v_lshlrev_b64_e32 v[0:1], 2, v[9:10]
	s_delay_alu instid0(VALU_DEP_2) | instskip(SKIP_1) | instid1(VALU_DEP_3)
	v_mov_b32_e32 v62, v8
	v_lshlrev_b64_e32 v[9:10], 2, v[7:8]
	v_add_co_u32 v0, vcc_lo, s10, v0
	s_wait_alu 0xfffd
	s_delay_alu instid0(VALU_DEP_4) | instskip(NEXT) | instid1(VALU_DEP_2)
	v_add_co_ci_u32_e32 v1, vcc_lo, s11, v1, vcc_lo
	v_add_co_u32 v0, vcc_lo, v0, v5
	s_wait_alu 0xfffd
	s_delay_alu instid0(VALU_DEP_2) | instskip(SKIP_1) | instid1(VALU_DEP_3)
	v_add_co_ci_u32_e32 v1, vcc_lo, v1, v6, vcc_lo
	v_lshlrev_b64_e32 v[5:6], 2, v[61:62]
	v_add_co_u32 v0, vcc_lo, v0, v9
	s_wait_alu 0xfffd
	s_delay_alu instid0(VALU_DEP_3) | instskip(NEXT) | instid1(VALU_DEP_2)
	v_add_co_ci_u32_e32 v1, vcc_lo, v1, v10, vcc_lo
	v_add_co_u32 v5, vcc_lo, v0, v5
	s_wait_alu 0xfffd
	s_delay_alu instid0(VALU_DEP_2)
	v_add_co_ci_u32_e32 v6, vcc_lo, v1, v6, vcc_lo
	s_wait_loadcnt 0x3
	v_lshrrev_b32_e32 v9, 16, v49
	v_lshrrev_b32_e32 v10, 16, v50
	;; [unrolled: 1-line block ×4, first 2 shown]
	v_mul_f16_e32 v63, v31, v49
	s_wait_loadcnt 0x2
	v_lshrrev_b32_e32 v64, 16, v57
	v_lshrrev_b32_e32 v65, 16, v58
	v_mul_f16_e32 v66, v33, v58
	v_mul_f16_e32 v67, v34, v52
	v_mul_f16_e32 v68, v30, v51
	v_mul_f16_e32 v69, v28, v50
	v_mul_f16_e32 v70, v32, v57
	s_wait_loadcnt 0x1
	v_lshrrev_b32_e32 v71, 16, v53
	v_lshrrev_b32_e32 v72, 16, v54
	;; [unrolled: 1-line block ×4, first 2 shown]
	v_mul_f16_e32 v75, v26, v53
	s_wait_loadcnt 0x0
	v_lshrrev_b32_e32 v76, 16, v59
	v_lshrrev_b32_e32 v77, 16, v60
	v_mul_f16_e32 v78, v29, v60
	v_mul_f16_e32 v79, v21, v56
	;; [unrolled: 1-line block ×5, first 2 shown]
	s_wait_dscnt 0x7
	v_fmac_f16_e32 v63, v45, v9
	s_wait_dscnt 0x4
	v_fmac_f16_e32 v66, v47, v65
	;; [unrolled: 2-line block ×3, first 2 shown]
	v_fmac_f16_e32 v68, v44, v61
	v_fmac_f16_e32 v69, v42, v10
	;; [unrolled: 1-line block ×3, first 2 shown]
	v_mul_f16_e32 v33, v33, v65
	v_mul_f16_e32 v9, v31, v9
	;; [unrolled: 1-line block ×6, first 2 shown]
	v_fmac_f16_e32 v75, v40, v71
	v_fmac_f16_e32 v78, v43, v77
	;; [unrolled: 1-line block ×6, first 2 shown]
	v_mul_f16_e32 v28, v29, v77
	v_mul_f16_e32 v26, v26, v71
	;; [unrolled: 1-line block ×6, first 2 shown]
	v_sub_f16_e32 v29, v63, v66
	v_sub_f16_e32 v34, v67, v68
	;; [unrolled: 1-line block ×3, first 2 shown]
	v_fma_f16 v33, v47, v58, -v33
	v_fma_f16 v9, v45, v49, -v9
	v_fma_f16 v30, v44, v51, -v30
	v_fma_f16 v31, v48, v52, -v31
	v_fma_f16 v32, v46, v57, -v32
	v_fma_f16 v10, v42, v50, -v10
	v_add_f16_e32 v42, v63, v66
	v_add_f16_e32 v44, v67, v68
	;; [unrolled: 1-line block ×3, first 2 shown]
	v_sub_f16_e32 v46, v75, v78
	v_sub_f16_e32 v47, v79, v80
	v_sub_f16_e32 v48, v81, v82
	v_fma_f16 v28, v43, v60, -v28
	v_fma_f16 v26, v40, v53, -v26
	;; [unrolled: 1-line block ×6, first 2 shown]
	v_add_f16_e32 v37, v75, v78
	v_add_f16_e32 v38, v79, v80
	;; [unrolled: 1-line block ×3, first 2 shown]
	v_sub_f16_e32 v41, v34, v61
	v_add_f16_e32 v43, v9, v33
	v_add_f16_e32 v49, v31, v30
	;; [unrolled: 1-line block ×3, first 2 shown]
	v_sub_f16_e32 v51, v42, v44
	v_sub_f16_e32 v52, v44, v45
	v_add_f16_e32 v53, v42, v45
	v_sub_f16_e32 v9, v9, v33
	v_sub_f16_e32 v30, v31, v30
	;; [unrolled: 1-line block ×7, first 2 shown]
	v_add_f16_e32 v45, v47, v48
	v_add_f16_e32 v47, v26, v28
	;; [unrolled: 1-line block ×3, first 2 shown]
	v_sub_f16_e32 v40, v29, v34
	v_add_f16_e32 v34, v34, v61
	v_add_f16_e32 v54, v21, v25
	v_sub_f16_e32 v57, v38, v39
	v_add_f16_e32 v58, v37, v39
	v_sub_f16_e32 v26, v26, v28
	v_sub_f16_e32 v21, v21, v25
	;; [unrolled: 1-line block ×5, first 2 shown]
	v_mul_f16_e32 v28, 0x3846, v41
	v_add_f16_e32 v39, v43, v50
	v_mul_f16_e32 v41, 0x3a52, v51
	v_mul_f16_e32 v48, 0x2b26, v52
	v_add_f16_e32 v44, v44, v53
	v_sub_f16_e32 v52, v9, v30
	v_sub_f16_e32 v53, v30, v10
	v_add_f16_e32 v30, v30, v10
	v_mul_f16_e32 v59, 0xbb00, v31
	v_sub_f16_e32 v10, v10, v9
	v_add_f16_e32 v60, v47, v55
	v_sub_f16_e32 v56, v37, v38
	v_add_f16_e32 v29, v29, v34
	v_sub_f16_e32 v34, v43, v49
	v_sub_f16_e32 v37, v49, v50
	;; [unrolled: 1-line block ×3, first 2 shown]
	v_mul_f16_e32 v42, 0x3846, v42
	v_add_f16_e32 v45, v46, v45
	v_sub_f16_e32 v46, v47, v54
	v_sub_f16_e32 v50, v54, v55
	v_mul_f16_e32 v57, 0x2b26, v57
	v_add_f16_e32 v38, v38, v58
	v_sub_f16_e32 v58, v26, v21
	v_sub_f16_e32 v62, v21, v24
	v_add_f16_e32 v21, v21, v24
	v_sub_f16_e32 v47, v55, v47
	v_sub_f16_e32 v24, v24, v26
	v_fmamk_f16 v55, v40, 0xb574, v28
	v_add_f16_e32 v39, v49, v39
	v_fmamk_f16 v49, v51, 0x3a52, v48
	v_add_f16_e32 v18, v18, v44
	v_mul_f16_e32 v51, 0x3846, v53
	v_add_f16_e32 v9, v9, v30
	v_fma_f16 v30, v40, 0x3574, -v59
	v_fma_f16 v40, v32, 0xb9e0, -v41
	v_mul_f16_e32 v41, 0xbb00, v10
	v_add_f16_e32 v53, v54, v60
	v_mul_f16_e32 v61, 0x3a52, v56
	v_mul_f16_e32 v63, 0xbb00, v25
	;; [unrolled: 1-line block ×4, first 2 shown]
	v_fma_f16 v28, v31, 0xbb00, -v28
	v_fma_f16 v31, v32, 0x39e0, -v48
	v_fmamk_f16 v32, v33, 0xb574, v42
	v_mul_f16_e32 v48, 0x3a52, v46
	v_mul_f16_e32 v50, 0x2b26, v50
	v_fmamk_f16 v54, v56, 0x3a52, v57
	v_add_f16_e32 v17, v17, v38
	v_mul_f16_e32 v56, 0x3846, v62
	v_mul_f16_e32 v59, 0xbb00, v24
	v_fma_f16 v25, v25, 0xbb00, -v42
	v_add_f16_e32 v36, v36, v39
	v_fmamk_f16 v42, v44, 0xbcab, v18
	v_fmamk_f16 v44, v52, 0xb574, v51
	v_fma_f16 v41, v52, 0x3574, -v41
	v_fma_f16 v10, v10, 0xbb00, -v51
	v_add_f16_e32 v35, v35, v53
	v_add_f16_e32 v21, v26, v21
	v_fma_f16 v26, v33, 0x3574, -v63
	v_fma_f16 v33, v27, 0xb9e0, -v61
	;; [unrolled: 1-line block ×3, first 2 shown]
	v_fmac_f16_e32 v55, 0xb70e, v29
	v_fmamk_f16 v34, v34, 0x3a52, v37
	v_fmac_f16_e32 v30, 0xb70e, v29
	v_fma_f16 v57, v43, 0xb9e0, -v64
	v_fma_f16 v37, v43, 0x39e0, -v37
	v_fmac_f16_e32 v28, 0xb70e, v29
	v_fmamk_f16 v29, v46, 0x3a52, v50
	v_fmamk_f16 v38, v38, 0xbcab, v17
	;; [unrolled: 1-line block ×3, first 2 shown]
	v_fma_f16 v46, v47, 0xb9e0, -v48
	v_fma_f16 v48, v58, 0x3574, -v59
	;; [unrolled: 1-line block ×3, first 2 shown]
	v_fmamk_f16 v39, v39, 0xbcab, v36
	v_fmac_f16_e32 v44, 0xb70e, v9
	v_fmac_f16_e32 v41, 0xb70e, v9
	;; [unrolled: 1-line block ×3, first 2 shown]
	v_add_f16_e32 v9, v31, v42
	v_fmamk_f16 v31, v53, 0xbcab, v35
	v_add_f16_e32 v40, v40, v42
	v_fma_f16 v47, v47, 0x39e0, -v50
	v_fmac_f16_e32 v32, 0xb70e, v45
	v_fmac_f16_e32 v26, 0xb70e, v45
	;; [unrolled: 1-line block ×3, first 2 shown]
	v_add_f16_e32 v45, v49, v42
	v_add_f16_e32 v42, v54, v38
	v_fmac_f16_e32 v43, 0xb70e, v21
	v_add_f16_e32 v33, v33, v38
	v_fmac_f16_e32 v48, 0xb70e, v21
	v_fmac_f16_e32 v24, 0xb70e, v21
	v_add_f16_e32 v21, v27, v38
	v_pack_b32_f16 v17, v17, v35
	v_add_f16_e32 v35, v57, v39
	v_add_f16_e32 v29, v29, v31
	v_pack_b32_f16 v18, v18, v36
	v_sub_f16_e32 v36, v40, v41
	v_add_f16_e32 v38, v10, v9
	v_sub_f16_e32 v9, v9, v10
	v_add_f16_e32 v10, v41, v40
	v_add_f16_e32 v41, v46, v31
	;; [unrolled: 1-line block ×5, first 2 shown]
	v_sub_f16_e32 v34, v45, v44
	v_add_f16_e32 v39, v44, v45
	v_sub_f16_e32 v40, v42, v43
	v_sub_f16_e32 v44, v33, v48
	v_add_f16_e32 v45, v24, v21
	v_sub_f16_e32 v21, v21, v24
	v_add_f16_e32 v24, v48, v33
	v_add_f16_e32 v33, v43, v42
	;; [unrolled: 1-line block ×3, first 2 shown]
	v_sub_f16_e32 v30, v35, v30
	v_add_f16_e32 v35, v32, v29
	v_sub_f16_e32 v29, v29, v32
	v_sub_f16_e32 v32, v41, v26
	;; [unrolled: 1-line block ×3, first 2 shown]
	v_add_f16_e32 v28, v28, v37
	v_add_f16_e32 v37, v25, v31
	v_sub_f16_e32 v25, v31, v25
	v_add_f16_e32 v42, v55, v27
	v_sub_f16_e32 v27, v27, v55
	v_add_f16_e32 v26, v26, v41
	v_pack_b32_f16 v29, v33, v29
	v_pack_b32_f16 v24, v24, v32
	;; [unrolled: 1-line block ×12, first 2 shown]
	s_clause 0xd
	global_store_b32 v[0:1], v17, off
	global_store_b32 v[0:1], v29, off offset:1020
	global_store_b32 v[0:1], v24, off offset:2040
	;; [unrolled: 1-line block ×13, first 2 shown]
	s_and_b32 exec_lo, exec_lo, s0
	s_cbranch_execz .LBB0_22
; %bb.21:
	v_subrev_nc_u32_e32 v5, 17, v7
	v_lshrrev_b32_e32 v17, 16, v3
	s_delay_alu instid0(VALU_DEP_2) | instskip(NEXT) | instid1(VALU_DEP_1)
	v_cndmask_b32_e64 v2, v5, v2, s0
	v_mul_i32_i24_e32 v7, 6, v2
	v_lshrrev_b32_e32 v2, 16, v4
	s_delay_alu instid0(VALU_DEP_2) | instskip(NEXT) | instid1(VALU_DEP_1)
	v_lshlrev_b64_e32 v[5:6], 2, v[7:8]
	v_add_co_u32 v9, vcc_lo, s4, v5
	s_wait_alu 0xfffd
	s_delay_alu instid0(VALU_DEP_2)
	v_add_co_ci_u32_e32 v10, vcc_lo, s5, v6, vcc_lo
	s_clause 0x1
	global_load_b128 v[5:8], v[9:10], off offset:952
	global_load_b64 v[9:10], v[9:10], off offset:968
	s_wait_loadcnt 0x1
	v_lshrrev_b32_e32 v18, 16, v5
	v_lshrrev_b32_e32 v21, 16, v6
	;; [unrolled: 1-line block ×3, first 2 shown]
	s_wait_loadcnt 0x0
	v_lshrrev_b32_e32 v26, 16, v9
	v_lshrrev_b32_e32 v27, 16, v10
	v_lshrrev_b32_e32 v25, 16, v8
	v_mul_f16_e32 v28, v3, v18
	v_mul_f16_e32 v18, v4, v18
	;; [unrolled: 1-line block ×12, first 2 shown]
	v_fmac_f16_e32 v28, v4, v5
	v_fma_f16 v3, v3, v5, -v18
	v_fmac_f16_e32 v29, v2, v6
	v_fma_f16 v2, v17, v6, -v21
	;; [unrolled: 2-line block ×6, first 2 shown]
	v_add_f16_e32 v8, v28, v33
	v_add_f16_e32 v9, v3, v5
	v_sub_f16_e32 v3, v3, v5
	v_add_f16_e32 v5, v29, v32
	v_add_f16_e32 v12, v2, v7
	v_sub_f16_e32 v10, v28, v33
	v_sub_f16_e32 v13, v29, v32
	;; [unrolled: 1-line block ×3, first 2 shown]
	v_add_f16_e32 v7, v30, v31
	v_add_f16_e32 v14, v4, v6
	v_sub_f16_e32 v15, v31, v30
	v_sub_f16_e32 v4, v6, v4
	v_add_f16_e32 v6, v5, v8
	v_add_f16_e32 v17, v12, v9
	v_sub_f16_e32 v18, v5, v8
	v_sub_f16_e32 v19, v12, v9
	;; [unrolled: 1-line block ×6, first 2 shown]
	v_add_f16_e32 v20, v15, v13
	v_add_f16_e32 v21, v4, v2
	v_sub_f16_e32 v22, v15, v13
	v_sub_f16_e32 v23, v4, v2
	v_sub_f16_e32 v13, v13, v10
	v_add_f16_e32 v6, v7, v6
	v_add_f16_e32 v7, v14, v17
	v_sub_f16_e32 v2, v2, v3
	v_sub_f16_e32 v15, v10, v15
	;; [unrolled: 1-line block ×3, first 2 shown]
	v_add_f16_e32 v10, v20, v10
	v_add_f16_e32 v3, v21, v3
	v_mul_f16_e32 v8, 0x3a52, v8
	v_mul_f16_e32 v9, 0x3a52, v9
	;; [unrolled: 1-line block ×7, first 2 shown]
	v_add_f16_e32 v11, v11, v6
	v_add_f16_e32 v16, v16, v7
	v_mul_f16_e32 v23, 0xbb00, v2
	v_fmamk_f16 v5, v5, 0x2b26, v8
	v_fmamk_f16 v12, v12, 0x2b26, v9
	v_fma_f16 v14, v18, 0x39e0, -v14
	v_fma_f16 v17, v19, 0x39e0, -v17
	;; [unrolled: 1-line block ×4, first 2 shown]
	v_fmamk_f16 v18, v15, 0xb574, v20
	v_fmamk_f16 v19, v4, 0xb574, v21
	v_fma_f16 v13, v13, 0xbb00, -v20
	v_fma_f16 v15, v15, 0x3574, -v22
	v_fmamk_f16 v6, v6, 0xbcab, v11
	v_fmamk_f16 v7, v7, 0xbcab, v16
	v_fma_f16 v2, v2, 0xbb00, -v21
	v_fma_f16 v4, v4, 0x3574, -v23
	v_fmac_f16_e32 v18, 0xb70e, v10
	v_fmac_f16_e32 v19, 0xb70e, v3
	;; [unrolled: 1-line block ×4, first 2 shown]
	v_add_f16_e32 v5, v5, v6
	v_add_f16_e32 v10, v12, v7
	v_fmac_f16_e32 v2, 0xb70e, v3
	v_fmac_f16_e32 v4, 0xb70e, v3
	v_pack_b32_f16 v3, v11, v16
	v_add_f16_e32 v11, v14, v6
	v_add_f16_e32 v6, v8, v6
	;; [unrolled: 1-line block ×5, first 2 shown]
	v_sub_f16_e32 v12, v10, v18
	v_add_f16_e32 v14, v4, v6
	v_sub_f16_e32 v16, v8, v15
	v_sub_f16_e32 v17, v11, v2
	v_add_f16_e32 v20, v13, v7
	v_add_f16_e32 v2, v2, v11
	v_sub_f16_e32 v7, v7, v13
	v_sub_f16_e32 v4, v6, v4
	v_add_f16_e32 v6, v15, v8
	v_sub_f16_e32 v5, v5, v19
	v_add_f16_e32 v8, v18, v10
	v_pack_b32_f16 v9, v9, v12
	v_pack_b32_f16 v10, v14, v16
	;; [unrolled: 1-line block ×6, first 2 shown]
	s_clause 0x6
	global_store_b32 v[0:1], v3, off offset:952
	global_store_b32 v[0:1], v9, off offset:1972
	;; [unrolled: 1-line block ×7, first 2 shown]
.LBB0_22:
	s_nop 0
	s_sendmsg sendmsg(MSG_DEALLOC_VGPRS)
	s_endpgm
	.section	.rodata,"a",@progbits
	.p2align	6, 0x0
	.amdhsa_kernel fft_rtc_back_len1785_factors_17_3_5_7_wgs_119_tpt_119_halfLds_half_op_CI_CI_unitstride_sbrr_dirReg
		.amdhsa_group_segment_fixed_size 0
		.amdhsa_private_segment_fixed_size 0
		.amdhsa_kernarg_size 104
		.amdhsa_user_sgpr_count 2
		.amdhsa_user_sgpr_dispatch_ptr 0
		.amdhsa_user_sgpr_queue_ptr 0
		.amdhsa_user_sgpr_kernarg_segment_ptr 1
		.amdhsa_user_sgpr_dispatch_id 0
		.amdhsa_user_sgpr_private_segment_size 0
		.amdhsa_wavefront_size32 1
		.amdhsa_uses_dynamic_stack 0
		.amdhsa_enable_private_segment 0
		.amdhsa_system_sgpr_workgroup_id_x 1
		.amdhsa_system_sgpr_workgroup_id_y 0
		.amdhsa_system_sgpr_workgroup_id_z 0
		.amdhsa_system_sgpr_workgroup_info 0
		.amdhsa_system_vgpr_workitem_id 0
		.amdhsa_next_free_vgpr 89
		.amdhsa_next_free_sgpr 39
		.amdhsa_reserve_vcc 1
		.amdhsa_float_round_mode_32 0
		.amdhsa_float_round_mode_16_64 0
		.amdhsa_float_denorm_mode_32 3
		.amdhsa_float_denorm_mode_16_64 3
		.amdhsa_fp16_overflow 0
		.amdhsa_workgroup_processor_mode 1
		.amdhsa_memory_ordered 1
		.amdhsa_forward_progress 0
		.amdhsa_round_robin_scheduling 0
		.amdhsa_exception_fp_ieee_invalid_op 0
		.amdhsa_exception_fp_denorm_src 0
		.amdhsa_exception_fp_ieee_div_zero 0
		.amdhsa_exception_fp_ieee_overflow 0
		.amdhsa_exception_fp_ieee_underflow 0
		.amdhsa_exception_fp_ieee_inexact 0
		.amdhsa_exception_int_div_zero 0
	.end_amdhsa_kernel
	.text
.Lfunc_end0:
	.size	fft_rtc_back_len1785_factors_17_3_5_7_wgs_119_tpt_119_halfLds_half_op_CI_CI_unitstride_sbrr_dirReg, .Lfunc_end0-fft_rtc_back_len1785_factors_17_3_5_7_wgs_119_tpt_119_halfLds_half_op_CI_CI_unitstride_sbrr_dirReg
                                        ; -- End function
	.section	.AMDGPU.csdata,"",@progbits
; Kernel info:
; codeLenInByte = 13128
; NumSgprs: 41
; NumVgprs: 89
; ScratchSize: 0
; MemoryBound: 0
; FloatMode: 240
; IeeeMode: 1
; LDSByteSize: 0 bytes/workgroup (compile time only)
; SGPRBlocks: 5
; VGPRBlocks: 11
; NumSGPRsForWavesPerEU: 41
; NumVGPRsForWavesPerEU: 89
; Occupancy: 16
; WaveLimiterHint : 1
; COMPUTE_PGM_RSRC2:SCRATCH_EN: 0
; COMPUTE_PGM_RSRC2:USER_SGPR: 2
; COMPUTE_PGM_RSRC2:TRAP_HANDLER: 0
; COMPUTE_PGM_RSRC2:TGID_X_EN: 1
; COMPUTE_PGM_RSRC2:TGID_Y_EN: 0
; COMPUTE_PGM_RSRC2:TGID_Z_EN: 0
; COMPUTE_PGM_RSRC2:TIDIG_COMP_CNT: 0
	.text
	.p2alignl 7, 3214868480
	.fill 96, 4, 3214868480
	.type	__hip_cuid_f244ece8f11a6b71,@object ; @__hip_cuid_f244ece8f11a6b71
	.section	.bss,"aw",@nobits
	.globl	__hip_cuid_f244ece8f11a6b71
__hip_cuid_f244ece8f11a6b71:
	.byte	0                               ; 0x0
	.size	__hip_cuid_f244ece8f11a6b71, 1

	.ident	"AMD clang version 19.0.0git (https://github.com/RadeonOpenCompute/llvm-project roc-6.4.0 25133 c7fe45cf4b819c5991fe208aaa96edf142730f1d)"
	.section	".note.GNU-stack","",@progbits
	.addrsig
	.addrsig_sym __hip_cuid_f244ece8f11a6b71
	.amdgpu_metadata
---
amdhsa.kernels:
  - .args:
      - .actual_access:  read_only
        .address_space:  global
        .offset:         0
        .size:           8
        .value_kind:     global_buffer
      - .offset:         8
        .size:           8
        .value_kind:     by_value
      - .actual_access:  read_only
        .address_space:  global
        .offset:         16
        .size:           8
        .value_kind:     global_buffer
      - .actual_access:  read_only
        .address_space:  global
        .offset:         24
        .size:           8
        .value_kind:     global_buffer
      - .actual_access:  read_only
        .address_space:  global
        .offset:         32
        .size:           8
        .value_kind:     global_buffer
      - .offset:         40
        .size:           8
        .value_kind:     by_value
      - .actual_access:  read_only
        .address_space:  global
        .offset:         48
        .size:           8
        .value_kind:     global_buffer
      - .actual_access:  read_only
        .address_space:  global
        .offset:         56
        .size:           8
        .value_kind:     global_buffer
      - .offset:         64
        .size:           4
        .value_kind:     by_value
      - .actual_access:  read_only
        .address_space:  global
        .offset:         72
        .size:           8
        .value_kind:     global_buffer
      - .actual_access:  read_only
        .address_space:  global
        .offset:         80
        .size:           8
        .value_kind:     global_buffer
      - .actual_access:  read_only
        .address_space:  global
        .offset:         88
        .size:           8
        .value_kind:     global_buffer
      - .actual_access:  write_only
        .address_space:  global
        .offset:         96
        .size:           8
        .value_kind:     global_buffer
    .group_segment_fixed_size: 0
    .kernarg_segment_align: 8
    .kernarg_segment_size: 104
    .language:       OpenCL C
    .language_version:
      - 2
      - 0
    .max_flat_workgroup_size: 119
    .name:           fft_rtc_back_len1785_factors_17_3_5_7_wgs_119_tpt_119_halfLds_half_op_CI_CI_unitstride_sbrr_dirReg
    .private_segment_fixed_size: 0
    .sgpr_count:     41
    .sgpr_spill_count: 0
    .symbol:         fft_rtc_back_len1785_factors_17_3_5_7_wgs_119_tpt_119_halfLds_half_op_CI_CI_unitstride_sbrr_dirReg.kd
    .uniform_work_group_size: 1
    .uses_dynamic_stack: false
    .vgpr_count:     89
    .vgpr_spill_count: 0
    .wavefront_size: 32
    .workgroup_processor_mode: 1
amdhsa.target:   amdgcn-amd-amdhsa--gfx1201
amdhsa.version:
  - 1
  - 2
...

	.end_amdgpu_metadata
